;; amdgpu-corpus repo=ROCm/rocFFT kind=compiled arch=gfx1201 opt=O3
	.text
	.amdgcn_target "amdgcn-amd-amdhsa--gfx1201"
	.amdhsa_code_object_version 6
	.protected	bluestein_single_back_len1755_dim1_sp_op_CI_CI ; -- Begin function bluestein_single_back_len1755_dim1_sp_op_CI_CI
	.globl	bluestein_single_back_len1755_dim1_sp_op_CI_CI
	.p2align	8
	.type	bluestein_single_back_len1755_dim1_sp_op_CI_CI,@function
bluestein_single_back_len1755_dim1_sp_op_CI_CI: ; @bluestein_single_back_len1755_dim1_sp_op_CI_CI
; %bb.0:
	s_load_b128 s[12:15], s[0:1], 0x28
	v_mul_u32_u24_e32 v1, 0x231, v0
	s_mov_b32 s2, exec_lo
	v_mov_b32_e32 v141, 0
	s_delay_alu instid0(VALU_DEP_2) | instskip(NEXT) | instid1(VALU_DEP_1)
	v_lshrrev_b32_e32 v1, 16, v1
	v_add_nc_u32_e32 v140, ttmp9, v1
	s_wait_kmcnt 0x0
	s_delay_alu instid0(VALU_DEP_1)
	v_cmpx_gt_u64_e64 s[12:13], v[140:141]
	s_cbranch_execz .LBB0_15
; %bb.1:
	s_clause 0x1
	s_load_b128 s[4:7], s[0:1], 0x18
	s_load_b64 s[12:13], s[0:1], 0x0
	v_mul_lo_u16 v1, 0x75, v1
	s_delay_alu instid0(VALU_DEP_1) | instskip(NEXT) | instid1(VALU_DEP_1)
	v_sub_nc_u16 v36, v0, v1
	v_and_b32_e32 v162, 0xffff, v36
	s_wait_kmcnt 0x0
	s_load_b128 s[8:11], s[4:5], 0x0
	s_wait_kmcnt 0x0
	v_mad_co_u64_u32 v[0:1], null, s10, v140, 0
	v_mad_co_u64_u32 v[2:3], null, s8, v162, 0
	s_mul_u64 s[2:3], s[8:9], 0x87
	s_delay_alu instid0(VALU_DEP_1) | instskip(NEXT) | instid1(VALU_DEP_1)
	v_mad_co_u64_u32 v[4:5], null, s11, v140, v[1:2]
	v_mov_b32_e32 v1, v4
	s_delay_alu instid0(VALU_DEP_3)
	v_mad_co_u64_u32 v[5:6], null, s9, v162, v[3:4]
	v_lshlrev_b32_e32 v161, 3, v162
	s_clause 0x3
	global_load_b64 v[155:156], v161, s[12:13]
	global_load_b64 v[153:154], v161, s[12:13] offset:1080
	global_load_b64 v[151:152], v161, s[12:13] offset:2160
	;; [unrolled: 1-line block ×3, first 2 shown]
	v_mov_b32_e32 v3, v5
	v_lshlrev_b64_e32 v[0:1], 3, v[0:1]
	s_clause 0x6
	global_load_b64 v[143:144], v161, s[12:13] offset:4320
	global_load_b64 v[134:135], v161, s[12:13] offset:5400
	;; [unrolled: 1-line block ×7, first 2 shown]
	v_lshlrev_b64_e32 v[2:3], 3, v[2:3]
	v_add_co_u32 v0, vcc_lo, s14, v0
	v_add_co_ci_u32_e32 v1, vcc_lo, s15, v1, vcc_lo
	s_lshl_b64 s[14:15], s[2:3], 3
	s_delay_alu instid0(VALU_DEP_2) | instskip(SKIP_1) | instid1(VALU_DEP_2)
	v_add_co_u32 v0, vcc_lo, v0, v2
	s_wait_alu 0xfffd
	v_add_co_ci_u32_e32 v1, vcc_lo, v1, v3, vcc_lo
	s_wait_alu 0xfffe
	s_delay_alu instid0(VALU_DEP_2) | instskip(SKIP_1) | instid1(VALU_DEP_2)
	v_add_co_u32 v2, vcc_lo, v0, s14
	s_wait_alu 0xfffd
	v_add_co_ci_u32_e32 v3, vcc_lo, s15, v1, vcc_lo
	s_clause 0x1
	global_load_b64 v[8:9], v[0:1], off
	global_load_b64 v[10:11], v[2:3], off
	v_add_co_u32 v4, vcc_lo, v2, s14
	s_wait_alu 0xfffd
	v_add_co_ci_u32_e32 v5, vcc_lo, s15, v3, vcc_lo
	s_delay_alu instid0(VALU_DEP_2) | instskip(SKIP_1) | instid1(VALU_DEP_2)
	v_add_co_u32 v6, vcc_lo, v4, s14
	s_wait_alu 0xfffd
	v_add_co_ci_u32_e32 v7, vcc_lo, s15, v5, vcc_lo
	s_clause 0x1
	global_load_b64 v[12:13], v[4:5], off
	global_load_b64 v[14:15], v[6:7], off
	v_add_co_u32 v0, vcc_lo, v6, s14
	s_wait_alu 0xfffd
	v_add_co_ci_u32_e32 v1, vcc_lo, s15, v7, vcc_lo
	s_delay_alu instid0(VALU_DEP_2) | instskip(SKIP_1) | instid1(VALU_DEP_2)
	v_add_co_u32 v2, vcc_lo, v0, s14
	s_wait_alu 0xfffd
	v_add_co_ci_u32_e32 v3, vcc_lo, s15, v1, vcc_lo
	global_load_b64 v[16:17], v[0:1], off
	v_add_co_u32 v0, vcc_lo, v2, s14
	s_wait_alu 0xfffd
	v_add_co_ci_u32_e32 v1, vcc_lo, s15, v3, vcc_lo
	global_load_b64 v[18:19], v[2:3], off
	v_add_co_u32 v2, vcc_lo, v0, s14
	s_wait_alu 0xfffd
	v_add_co_ci_u32_e32 v3, vcc_lo, s15, v1, vcc_lo
	global_load_b64 v[20:21], v[0:1], off
	v_add_co_u32 v0, vcc_lo, v2, s14
	s_wait_alu 0xfffd
	v_add_co_ci_u32_e32 v1, vcc_lo, s15, v3, vcc_lo
	global_load_b64 v[22:23], v[2:3], off
	v_add_co_u32 v2, vcc_lo, v0, s14
	s_wait_alu 0xfffd
	v_add_co_ci_u32_e32 v3, vcc_lo, s15, v1, vcc_lo
	global_load_b64 v[24:25], v[0:1], off
	v_add_co_u32 v0, vcc_lo, v2, s14
	s_wait_alu 0xfffd
	v_add_co_ci_u32_e32 v1, vcc_lo, s15, v3, vcc_lo
	global_load_b64 v[26:27], v[2:3], off
	v_add_co_u32 v2, vcc_lo, v0, s14
	s_wait_alu 0xfffd
	v_add_co_ci_u32_e32 v3, vcc_lo, s15, v1, vcc_lo
	global_load_b64 v[28:29], v[0:1], off
	v_add_co_u32 v0, vcc_lo, v2, s14
	s_wait_alu 0xfffd
	v_add_co_ci_u32_e32 v1, vcc_lo, s15, v3, vcc_lo
	v_cmp_gt_u16_e32 vcc_lo, 18, v36
	s_wait_loadcnt 0xa
	v_mul_f32_e32 v6, v8, v156
	global_load_b64 v[145:146], v161, s[12:13] offset:11880
	global_load_b64 v[30:31], v[2:3], off
	global_load_b64 v[147:148], v161, s[12:13] offset:12960
	global_load_b64 v[32:33], v[0:1], off
	v_add_nc_u32_e32 v2, 0x1800, v161
	s_wait_loadcnt 0xd
	v_dual_mul_f32 v34, v11, v154 :: v_dual_add_nc_u32 v5, 0x800, v161
	v_dual_mul_f32 v7, v9, v156 :: v_dual_add_nc_u32 v4, 0x2000, v161
	v_mul_f32_e32 v35, v10, v154
	v_add_nc_u32_e32 v3, 0x1000, v161
	s_delay_alu instid0(VALU_DEP_3)
	v_dual_fmac_f32 v34, v10, v153 :: v_dual_fmac_f32 v7, v8, v155
	v_fma_f32 v8, v9, v155, -v6
	s_wait_loadcnt 0xc
	v_mul_f32_e32 v10, v12, v152
	v_add_nc_u32_e32 v6, 0x2800, v161
	v_fma_f32 v35, v11, v153, -v35
	s_wait_loadcnt 0xb
	v_mul_f32_e32 v11, v15, v150
	s_load_b64 s[10:11], s[0:1], 0x38
	s_load_b128 s[4:7], s[6:7], 0x0
	v_mul_f32_e32 v9, v13, v152
	v_fma_f32 v10, v13, v151, -v10
	ds_store_2addr_b64 v161, v[7:8], v[34:35] offset1:135
	v_mul_f32_e32 v8, v14, v150
	v_fmac_f32_e32 v11, v14, v149
	v_fmac_f32_e32 v9, v12, v151
	s_wait_loadcnt 0xa
	v_mul_f32_e32 v7, v17, v144
	v_mul_f32_e32 v14, v16, v144
	v_fma_f32 v12, v15, v149, -v8
	v_add_co_u32 v128, s2, s12, v161
	s_wait_loadcnt 0x9
	v_mul_f32_e32 v34, v18, v135
	v_mul_f32_e32 v13, v19, v135
	v_fmac_f32_e32 v7, v16, v143
	v_fma_f32 v8, v17, v143, -v14
	v_add_co_ci_u32_e64 v129, null, s13, 0, s2
	s_delay_alu instid0(VALU_DEP_4) | instskip(SKIP_4) | instid1(VALU_DEP_2)
	v_fmac_f32_e32 v13, v18, v134
	v_fma_f32 v14, v19, v134, -v34
	s_wait_loadcnt 0x4
	v_mul_f32_e32 v15, v29, v133
	v_mul_f32_e32 v16, v28, v133
	v_fmac_f32_e32 v15, v28, v132
	s_delay_alu instid0(VALU_DEP_2)
	v_fma_f32 v16, v29, v132, -v16
	s_wait_loadcnt 0x2
	v_mul_f32_e32 v18, v30, v146
	ds_store_2addr_b64 v3, v[7:8], v[13:14] offset0:28 offset1:163
	v_mul_f32_e32 v8, v22, v142
	ds_store_2addr_b64 v5, v[9:10], v[11:12] offset0:14 offset1:149
	v_mul_f32_e32 v9, v21, v139
	v_dual_mul_f32 v10, v20, v139 :: v_dual_mul_f32 v11, v23, v142
	v_mul_f32_e32 v7, v25, v131
	v_fma_f32 v12, v23, v141, -v8
	v_dual_mul_f32 v8, v24, v131 :: v_dual_mul_f32 v13, v27, v137
	v_dual_mul_f32 v14, v26, v137 :: v_dual_mul_f32 v17, v31, v146
	v_fmac_f32_e32 v9, v20, v138
	s_wait_loadcnt 0x0
	v_mul_f32_e32 v20, v32, v148
	v_mul_f32_e32 v19, v33, v148
	v_fma_f32 v10, v21, v138, -v10
	v_fmac_f32_e32 v11, v22, v141
	v_fmac_f32_e32 v7, v24, v130
	v_fma_f32 v8, v25, v130, -v8
	v_fmac_f32_e32 v13, v26, v136
	v_fma_f32 v14, v27, v136, -v14
	;; [unrolled: 2-line block ×4, first 2 shown]
	ds_store_2addr_b64 v2, v[9:10], v[11:12] offset0:42 offset1:177
	ds_store_2addr_b64 v4, v[7:8], v[13:14] offset0:56 offset1:191
	;; [unrolled: 1-line block ×3, first 2 shown]
	ds_store_b64 v161, v[19:20] offset:12960
	s_and_saveexec_b32 s3, vcc_lo
	s_cbranch_execz .LBB0_3
; %bb.2:
	v_mad_co_u64_u32 v[0:1], null, 0xffffd108, s8, v[0:1]
	s_mul_i32 s2, s9, 0xffffd108
	s_clause 0x3
	global_load_b64 v[13:14], v[128:129], off offset:936
	global_load_b64 v[15:16], v[128:129], off offset:2016
	;; [unrolled: 1-line block ×4, first 2 shown]
	s_wait_alu 0xfffe
	s_sub_co_i32 s2, s2, s8
	s_wait_alu 0xfffe
	v_add_nc_u32_e32 v1, s2, v1
	v_add_co_u32 v7, s2, v0, s14
	s_wait_alu 0xf1ff
	s_delay_alu instid0(VALU_DEP_2) | instskip(NEXT) | instid1(VALU_DEP_2)
	v_add_co_ci_u32_e64 v8, s2, s15, v1, s2
	v_add_co_u32 v9, s2, v7, s14
	global_load_b64 v[0:1], v[0:1], off
	s_wait_alu 0xf1ff
	v_add_co_ci_u32_e64 v10, s2, s15, v8, s2
	v_add_co_u32 v11, s2, v9, s14
	v_add_nc_u32_e32 v60, 0x1400, v161
	s_wait_alu 0xf1ff
	s_delay_alu instid0(VALU_DEP_3) | instskip(NEXT) | instid1(VALU_DEP_3)
	v_add_co_ci_u32_e64 v12, s2, s15, v10, s2
	v_add_co_u32 v21, s2, v11, s14
	s_wait_alu 0xf1ff
	s_delay_alu instid0(VALU_DEP_2) | instskip(NEXT) | instid1(VALU_DEP_2)
	v_add_co_ci_u32_e64 v22, s2, s15, v12, s2
	v_add_co_u32 v23, s2, v21, s14
	s_wait_alu 0xf1ff
	s_delay_alu instid0(VALU_DEP_2)
	v_add_co_ci_u32_e64 v24, s2, s15, v22, s2
	global_load_b64 v[7:8], v[7:8], off
	global_load_b64 v[9:10], v[9:10], off
	;; [unrolled: 1-line block ×5, first 2 shown]
	v_add_co_u32 v23, s2, v23, s14
	s_wait_alu 0xf1ff
	v_add_co_ci_u32_e64 v24, s2, s15, v24, s2
	s_clause 0x1
	global_load_b64 v[27:28], v[128:129], off offset:5256
	global_load_b64 v[29:30], v[128:129], off offset:6336
	v_add_co_u32 v31, s2, v23, s14
	s_wait_alu 0xf1ff
	v_add_co_ci_u32_e64 v32, s2, s15, v24, s2
	global_load_b64 v[23:24], v[23:24], off
	v_add_co_u32 v33, s2, v31, s14
	s_wait_alu 0xf1ff
	v_add_co_ci_u32_e64 v34, s2, s15, v32, s2
	global_load_b64 v[31:32], v[31:32], off
	v_add_co_u32 v35, s2, v33, s14
	s_wait_alu 0xf1ff
	v_add_co_ci_u32_e64 v36, s2, s15, v34, s2
	s_clause 0x1
	global_load_b64 v[37:38], v[128:129], off offset:7416
	global_load_b64 v[39:40], v[128:129], off offset:8496
	v_add_co_u32 v41, s2, v35, s14
	s_wait_alu 0xf1ff
	v_add_co_ci_u32_e64 v42, s2, s15, v36, s2
	global_load_b64 v[33:34], v[33:34], off
	global_load_b64 v[35:36], v[35:36], off
	s_clause 0x1
	global_load_b64 v[43:44], v[128:129], off offset:9576
	global_load_b64 v[45:46], v[128:129], off offset:10656
	global_load_b64 v[47:48], v[41:42], off
	v_add_co_u32 v41, s2, v41, s14
	s_wait_alu 0xf1ff
	v_add_co_ci_u32_e64 v42, s2, s15, v42, s2
	global_load_b64 v[49:50], v[128:129], off offset:11736
	v_add_co_u32 v51, s2, v41, s14
	s_wait_alu 0xf1ff
	v_add_co_ci_u32_e64 v52, s2, s15, v42, s2
	global_load_b64 v[41:42], v[41:42], off
	s_clause 0x1
	global_load_b64 v[53:54], v[128:129], off offset:12816
	global_load_b64 v[55:56], v[128:129], off offset:13896
	global_load_b64 v[51:52], v[51:52], off
	v_add_nc_u32_e32 v59, 0xc00, v161
	v_add_nc_u32_e32 v62, 0x2400, v161
	s_wait_loadcnt 0x15
	v_dual_mul_f32 v58, v0, v14 :: v_dual_add_nc_u32 v63, 0x2c00, v161
	v_mul_f32_e32 v57, v1, v14
	s_delay_alu instid0(VALU_DEP_2) | instskip(NEXT) | instid1(VALU_DEP_2)
	v_fma_f32 v58, v1, v13, -v58
	v_fmac_f32_e32 v57, v0, v13
	s_wait_loadcnt 0x14
	v_mul_f32_e32 v14, v8, v16
	v_mul_f32_e32 v1, v7, v16
	s_wait_loadcnt 0x12
	v_dual_mul_f32 v16, v11, v20 :: v_dual_add_nc_u32 v61, 0x1c00, v161
	v_mul_f32_e32 v0, v10, v18
	v_dual_fmac_f32 v14, v7, v15 :: v_dual_mul_f32 v13, v9, v18
	v_mul_f32_e32 v7, v12, v20
	v_fma_f32 v15, v8, v15, -v1
	s_delay_alu instid0(VALU_DEP_4)
	v_fmac_f32_e32 v0, v9, v17
	v_fma_f32 v8, v12, v19, -v16
	s_wait_loadcnt 0xf
	v_mul_f32_e32 v9, v22, v28
	v_fmac_f32_e32 v7, v11, v19
	ds_store_2addr_b64 v161, v[57:58], v[14:15] offset0:117 offset1:252
	s_wait_loadcnt 0xa
	v_mul_f32_e32 v14, v31, v40
	v_fma_f32 v1, v10, v17, -v13
	v_mul_f32_e32 v10, v21, v28
	s_wait_loadcnt 0x7
	v_mul_f32_e32 v13, v34, v44
	s_wait_loadcnt 0x6
	v_mul_f32_e32 v15, v36, v46
	v_mul_f32_e32 v16, v35, v46
	ds_store_2addr_b64 v59, v[0:1], v[7:8] offset0:3 offset1:138
	v_mul_f32_e32 v1, v25, v30
	v_mul_f32_e32 v0, v24, v38
	;; [unrolled: 1-line block ×3, first 2 shown]
	v_dual_fmac_f32 v9, v21, v27 :: v_dual_mul_f32 v8, v23, v38
	s_wait_loadcnt 0x4
	v_dual_mul_f32 v7, v32, v40 :: v_dual_mul_f32 v18, v47, v50
	v_fma_f32 v10, v22, v27, -v10
	v_fmac_f32_e32 v0, v23, v37
	v_fmac_f32_e32 v11, v25, v29
	s_delay_alu instid0(VALU_DEP_4)
	v_fmac_f32_e32 v7, v31, v39
	s_wait_loadcnt 0x0
	v_mul_f32_e32 v22, v51, v56
	v_fma_f32 v12, v26, v29, -v1
	v_fma_f32 v1, v24, v37, -v8
	;; [unrolled: 1-line block ×3, first 2 shown]
	v_dual_mul_f32 v14, v33, v44 :: v_dual_mul_f32 v17, v48, v50
	v_mul_f32_e32 v19, v42, v54
	v_dual_mul_f32 v20, v41, v54 :: v_dual_mul_f32 v21, v52, v56
	v_fmac_f32_e32 v13, v33, v43
	s_delay_alu instid0(VALU_DEP_4)
	v_fma_f32 v14, v34, v43, -v14
	v_fmac_f32_e32 v15, v35, v45
	v_fma_f32 v16, v36, v45, -v16
	v_fmac_f32_e32 v17, v47, v49
	;; [unrolled: 2-line block ×4, first 2 shown]
	v_fma_f32 v22, v52, v55, -v22
	ds_store_2addr_b64 v60, v[9:10], v[11:12] offset0:17 offset1:152
	ds_store_2addr_b64 v61, v[0:1], v[7:8] offset0:31 offset1:166
	;; [unrolled: 1-line block ×4, first 2 shown]
	ds_store_b64 v161, v[21:22] offset:13896
.LBB0_3:
	s_wait_alu 0xfffe
	s_or_b32 exec_lo, exec_lo, s3
	global_wb scope:SCOPE_SE
	s_wait_dscnt 0x0
	s_wait_kmcnt 0x0
	s_barrier_signal -1
	s_barrier_wait -1
	global_inv scope:SCOPE_SE
	ds_load_2addr_b64 v[44:47], v161 offset1:135
	ds_load_2addr_b64 v[32:35], v5 offset0:14 offset1:149
	ds_load_2addr_b64 v[24:27], v3 offset0:28 offset1:163
	;; [unrolled: 1-line block ×5, first 2 shown]
	ds_load_b64 v[50:51], v161 offset:12960
	s_load_b64 s[0:1], s[0:1], 0x8
	v_mov_b32_e32 v0, 0
	v_mov_b32_e32 v1, 0
                                        ; implicit-def: $vgpr14
                                        ; implicit-def: $vgpr8
                                        ; implicit-def: $vgpr4
                                        ; implicit-def: $vgpr48
                                        ; implicit-def: $vgpr18
                                        ; implicit-def: $vgpr42
	s_and_saveexec_b32 s2, vcc_lo
	s_cbranch_execz .LBB0_5
; %bb.4:
	v_add_nc_u32_e32 v4, 0xc00, v161
	v_add_nc_u32_e32 v5, 0x1400, v161
	;; [unrolled: 1-line block ×5, first 2 shown]
	ds_load_2addr_b64 v[0:3], v161 offset0:117 offset1:252
	ds_load_2addr_b64 v[40:43], v4 offset0:3 offset1:138
	;; [unrolled: 1-line block ×6, first 2 shown]
	ds_load_b64 v[48:49], v161 offset:13896
.LBB0_5:
	s_wait_alu 0xfffe
	s_or_b32 exec_lo, exec_lo, s2
	s_wait_dscnt 0x6
	v_dual_add_f32 v52, v44, v46 :: v_dual_add_f32 v53, v45, v47
	v_add_co_u32 v76, s2, 0x75, v162
	s_wait_alu 0xf1ff
	v_add_co_ci_u32_e64 v54, null, 0, 0, s2
	s_wait_dscnt 0x5
	v_dual_add_f32 v52, v52, v32 :: v_dual_add_f32 v53, v53, v33
	s_wait_dscnt 0x0
	v_add_f32_e32 v54, v50, v46
	v_dual_sub_f32 v56, v46, v50 :: v_dual_add_f32 v57, v51, v47
	s_delay_alu instid0(VALU_DEP_3) | instskip(NEXT) | instid1(VALU_DEP_2)
	v_dual_add_f32 v52, v52, v34 :: v_dual_sub_f32 v55, v47, v51
	v_dual_add_f32 v53, v53, v35 :: v_dual_mul_f32 v68, 0xbf6f5d39, v56
	s_delay_alu instid0(VALU_DEP_2) | instskip(NEXT) | instid1(VALU_DEP_2)
	v_dual_sub_f32 v75, v33, v39 :: v_dual_add_f32 v46, v52, v24
	v_dual_mul_f32 v52, 0xbeedf032, v55 :: v_dual_add_f32 v47, v53, v25
	v_mul_f32_e32 v53, 0xbeedf032, v56
	v_dual_mul_f32 v58, 0xbf52af12, v55 :: v_dual_mul_f32 v59, 0xbf52af12, v56
	s_delay_alu instid0(VALU_DEP_3) | instskip(SKIP_1) | instid1(VALU_DEP_3)
	v_dual_add_f32 v46, v46, v26 :: v_dual_add_f32 v47, v47, v27
	v_dual_mul_f32 v60, 0xbf7e222b, v55 :: v_dual_mul_f32 v61, 0xbf7e222b, v56
	v_fma_f32 v65, 0x3f116cb1, v54, -v58
	s_delay_alu instid0(VALU_DEP_3) | instskip(SKIP_2) | instid1(VALU_DEP_4)
	v_dual_add_f32 v46, v46, v20 :: v_dual_add_f32 v47, v47, v21
	v_fmamk_f32 v64, v57, 0x3f62ad3f, v53
	v_fma_f32 v53, 0x3f62ad3f, v57, -v53
	v_dual_fmamk_f32 v66, v57, 0x3f116cb1, v59 :: v_dual_add_f32 v65, v44, v65
	s_delay_alu instid0(VALU_DEP_4) | instskip(SKIP_1) | instid1(VALU_DEP_4)
	v_add_f32_e32 v47, v47, v23
	v_mul_f32_e32 v62, 0xbf6f5d39, v55
	v_dual_fmac_f32 v58, 0x3f116cb1, v54 :: v_dual_add_f32 v53, v45, v53
	v_fma_f32 v59, 0x3f116cb1, v57, -v59
	s_delay_alu instid0(VALU_DEP_4) | instskip(SKIP_1) | instid1(VALU_DEP_4)
	v_dual_add_f32 v47, v47, v29 :: v_dual_add_f32 v46, v46, v22
	v_fma_f32 v67, 0x3df6dbef, v54, -v60
	v_dual_add_f32 v58, v44, v58 :: v_dual_mul_f32 v69, 0xbf29c268, v55
	s_delay_alu instid0(VALU_DEP_3) | instskip(SKIP_2) | instid1(VALU_DEP_4)
	v_dual_add_f32 v47, v47, v31 :: v_dual_add_f32 v46, v46, v28
	v_fma_f32 v63, 0x3f62ad3f, v54, -v52
	v_fmac_f32_e32 v52, 0x3f62ad3f, v54
	v_fma_f32 v72, 0xbf3f9e67, v54, -v69
	s_delay_alu instid0(VALU_DEP_4) | instskip(SKIP_3) | instid1(VALU_DEP_4)
	v_dual_add_f32 v47, v47, v37 :: v_dual_add_f32 v46, v46, v30
	v_add_f32_e32 v59, v45, v59
	v_dual_add_f32 v63, v44, v63 :: v_dual_fmamk_f32 v70, v57, 0xbeb58ec6, v68
	v_add_f32_e32 v33, v39, v33
	v_dual_add_f32 v47, v47, v39 :: v_dual_add_f32 v46, v46, v36
	v_add_f32_e32 v64, v45, v64
	v_fma_f32 v68, 0xbeb58ec6, v57, -v68
	s_delay_alu instid0(VALU_DEP_3) | instskip(NEXT) | instid1(VALU_DEP_4)
	v_dual_add_f32 v78, v38, v32 :: v_dual_add_f32 v47, v47, v51
	v_dual_add_f32 v46, v46, v38 :: v_dual_add_f32 v51, v44, v67
	v_mul_f32_e32 v71, 0xbf29c268, v56
	v_fma_f32 v67, 0xbeb58ec6, v54, -v62
	v_mul_f32_e32 v56, 0xbe750f2a, v56
	s_delay_alu instid0(VALU_DEP_4) | instskip(NEXT) | instid1(VALU_DEP_4)
	v_add_f32_e32 v46, v46, v50
	v_dual_add_f32 v72, v44, v72 :: v_dual_fmamk_f32 v73, v57, 0xbf3f9e67, v71
	v_fmac_f32_e32 v60, 0x3df6dbef, v54
	v_fma_f32 v71, 0xbf3f9e67, v57, -v71
	v_fmac_f32_e32 v69, 0xbf3f9e67, v54
	v_fmamk_f32 v50, v57, 0x3df6dbef, v61
	s_delay_alu instid0(VALU_DEP_4) | instskip(NEXT) | instid1(VALU_DEP_4)
	v_dual_add_f32 v73, v45, v73 :: v_dual_add_f32 v60, v44, v60
	v_dual_fmac_f32 v62, 0xbeb58ec6, v54 :: v_dual_add_f32 v71, v45, v71
	v_mul_f32_e32 v55, 0xbe750f2a, v55
	s_delay_alu instid0(VALU_DEP_4) | instskip(SKIP_2) | instid1(VALU_DEP_4)
	v_dual_add_f32 v69, v44, v69 :: v_dual_add_f32 v50, v45, v50
	v_sub_f32_e32 v32, v32, v38
	v_dual_add_f32 v70, v45, v70 :: v_dual_mul_f32 v79, 0xbf52af12, v75
	v_fma_f32 v74, 0xbf788fa5, v54, -v55
	v_dual_add_f32 v62, v44, v62 :: v_dual_fmamk_f32 v77, v57, 0xbf788fa5, v56
	v_dual_add_f32 v68, v45, v68 :: v_dual_fmac_f32 v55, 0xbf788fa5, v54
	s_delay_alu instid0(VALU_DEP_3)
	v_dual_add_f32 v74, v44, v74 :: v_dual_mul_f32 v39, 0xbf52af12, v32
	v_dual_add_f32 v66, v45, v66 :: v_dual_add_f32 v67, v44, v67
	v_fma_f32 v61, 0x3df6dbef, v57, -v61
	v_dual_add_f32 v52, v44, v52 :: v_dual_add_f32 v77, v45, v77
	v_fma_f32 v38, 0xbf788fa5, v57, -v56
	v_dual_add_f32 v44, v44, v55 :: v_dual_fmamk_f32 v55, v33, 0x3f116cb1, v39
	v_fma_f32 v54, 0x3f116cb1, v78, -v79
	v_fmac_f32_e32 v79, 0x3f116cb1, v78
	v_add_f32_e32 v61, v45, v61
	s_delay_alu instid0(VALU_DEP_4) | instskip(NEXT) | instid1(VALU_DEP_4)
	v_dual_add_f32 v38, v45, v38 :: v_dual_add_f32 v55, v55, v64
	v_add_f32_e32 v45, v54, v63
	v_fma_f32 v39, 0x3f116cb1, v33, -v39
	v_mul_f32_e32 v54, 0xbf6f5d39, v75
	v_dual_mul_f32 v63, 0xbe750f2a, v75 :: v_dual_mul_f32 v64, 0xbe750f2a, v32
	v_sub_f32_e32 v103, v13, v15
	s_delay_alu instid0(VALU_DEP_4) | instskip(NEXT) | instid1(VALU_DEP_4)
	v_add_f32_e32 v39, v39, v53
	v_fma_f32 v57, 0xbeb58ec6, v78, -v54
	v_mul_f32_e32 v56, 0xbf6f5d39, v32
	v_mul_u32_u24_e32 v163, 13, v76
	global_wb scope:SCOPE_SE
	s_wait_kmcnt 0x0
	s_barrier_signal -1
	v_dual_add_f32 v57, v57, v65 :: v_dual_add_f32 v52, v79, v52
	v_fmamk_f32 v53, v33, 0xbeb58ec6, v56
	v_fma_f32 v56, 0xbeb58ec6, v33, -v56
	v_fma_f32 v65, 0xbf788fa5, v78, -v63
	v_fmac_f32_e32 v54, 0xbeb58ec6, v78
	s_barrier_wait -1
	s_delay_alu instid0(VALU_DEP_3) | instskip(SKIP_1) | instid1(VALU_DEP_3)
	v_dual_add_f32 v53, v53, v66 :: v_dual_add_f32 v56, v56, v59
	v_fmamk_f32 v59, v33, 0xbf788fa5, v64
	v_dual_add_f32 v51, v65, v51 :: v_dual_add_f32 v54, v54, v58
	v_mul_f32_e32 v58, 0x3f29c268, v75
	v_fma_f32 v64, 0xbf788fa5, v33, -v64
	s_delay_alu instid0(VALU_DEP_4) | instskip(SKIP_1) | instid1(VALU_DEP_4)
	v_dual_add_f32 v50, v59, v50 :: v_dual_mul_f32 v59, 0x3f29c268, v32
	v_mul_f32_e32 v66, 0x3f7e222b, v32
	v_fma_f32 v65, 0xbf3f9e67, v78, -v58
	s_delay_alu instid0(VALU_DEP_4)
	v_dual_fmac_f32 v58, 0xbf3f9e67, v78 :: v_dual_add_f32 v61, v64, v61
	v_mul_f32_e32 v32, 0x3eedf032, v32
	global_inv scope:SCOPE_SE
	v_dual_sub_f32 v83, v41, v7 :: v_dual_add_f32 v58, v58, v62
	v_fmamk_f32 v62, v33, 0x3df6dbef, v66
	v_fmac_f32_e32 v63, 0xbf788fa5, v78
	s_delay_alu instid0(VALU_DEP_3) | instskip(SKIP_1) | instid1(VALU_DEP_4)
	v_dual_sub_f32 v84, v40, v6 :: v_dual_mul_f32 v85, 0xbf6f5d39, v83
	v_add_f32_e32 v80, v7, v41
	v_add_f32_e32 v62, v62, v73
	s_delay_alu instid0(VALU_DEP_4)
	v_dual_add_f32 v60, v63, v60 :: v_dual_add_f32 v63, v65, v67
	v_fmamk_f32 v65, v33, 0xbf3f9e67, v59
	v_mul_f32_e32 v64, 0x3f7e222b, v75
	v_fma_f32 v59, 0xbf3f9e67, v33, -v59
	v_mul_f32_e32 v89, 0xbf6f5d39, v84
	v_add_f32_e32 v79, v6, v40
	v_add_f32_e32 v65, v65, v70
	v_fma_f32 v67, 0x3df6dbef, v78, -v64
	v_dual_fmac_f32 v64, 0x3df6dbef, v78 :: v_dual_add_f32 v59, v59, v68
	s_delay_alu instid0(VALU_DEP_4) | instskip(SKIP_1) | instid1(VALU_DEP_3)
	v_fma_f32 v88, 0xbeb58ec6, v79, -v85
	v_fmac_f32_e32 v85, 0xbeb58ec6, v79
	v_dual_add_f32 v67, v67, v72 :: v_dual_add_f32 v64, v64, v69
	v_sub_f32_e32 v69, v35, v37
	v_add_f32_e32 v35, v37, v35
	v_fma_f32 v66, 0x3df6dbef, v33, -v66
	v_fmamk_f32 v72, v33, 0x3f62ad3f, v32
	v_fma_f32 v32, 0x3f62ad3f, v33, -v32
	v_dual_mul_f32 v73, 0xbf7e222b, v69 :: v_dual_sub_f32 v104, v12, v14
	s_delay_alu instid0(VALU_DEP_4) | instskip(SKIP_1) | instid1(VALU_DEP_4)
	v_dual_add_f32 v66, v66, v71 :: v_dual_add_f32 v71, v36, v34
	v_sub_f32_e32 v34, v34, v36
	v_add_f32_e32 v32, v32, v38
	v_mul_f32_e32 v38, 0xbe750f2a, v69
	s_delay_alu instid0(VALU_DEP_4) | instskip(SKIP_3) | instid1(VALU_DEP_4)
	v_fma_f32 v33, 0x3df6dbef, v71, -v73
	v_mul_f32_e32 v68, 0x3eedf032, v75
	v_mul_f32_e32 v36, 0xbf7e222b, v34
	v_fmac_f32_e32 v73, 0x3df6dbef, v71
	v_add_f32_e32 v33, v33, v45
	s_delay_alu instid0(VALU_DEP_4) | instskip(SKIP_2) | instid1(VALU_DEP_2)
	v_fma_f32 v70, 0x3f62ad3f, v78, -v68
	v_fmac_f32_e32 v68, 0x3f62ad3f, v78
	v_mul_f32_e32 v45, 0xbe750f2a, v34
	v_dual_add_f32 v70, v70, v74 :: v_dual_add_f32 v37, v68, v44
	v_add_f32_e32 v72, v72, v77
	v_fmamk_f32 v44, v35, 0x3df6dbef, v36
	v_fma_f32 v36, 0x3df6dbef, v35, -v36
	v_fma_f32 v68, 0xbf788fa5, v71, -v38
	s_delay_alu instid0(VALU_DEP_2) | instskip(NEXT) | instid1(VALU_DEP_4)
	v_dual_add_f32 v77, v22, v20 :: v_dual_add_f32 v36, v36, v39
	v_dual_fmamk_f32 v39, v35, 0xbf788fa5, v45 :: v_dual_add_f32 v44, v44, v55
	s_delay_alu instid0(VALU_DEP_3) | instskip(SKIP_2) | instid1(VALU_DEP_4)
	v_add_f32_e32 v55, v68, v57
	v_mul_f32_e32 v57, 0x3f6f5d39, v69
	v_fma_f32 v45, 0xbf788fa5, v35, -v45
	v_add_f32_e32 v39, v39, v53
	v_dual_mul_f32 v53, 0x3f6f5d39, v34 :: v_dual_add_f32 v52, v73, v52
	s_delay_alu instid0(VALU_DEP_4) | instskip(SKIP_1) | instid1(VALU_DEP_3)
	v_fma_f32 v68, 0xbeb58ec6, v71, -v57
	v_fmac_f32_e32 v57, 0xbeb58ec6, v71
	v_dual_add_f32 v45, v45, v56 :: v_dual_fmamk_f32 v56, v35, 0xbeb58ec6, v53
	v_fma_f32 v53, 0xbeb58ec6, v35, -v53
	s_delay_alu instid0(VALU_DEP_4) | instskip(NEXT) | instid1(VALU_DEP_4)
	v_add_f32_e32 v51, v68, v51
	v_dual_fmac_f32 v38, 0xbf788fa5, v71 :: v_dual_add_f32 v57, v57, v60
	s_delay_alu instid0(VALU_DEP_3) | instskip(NEXT) | instid1(VALU_DEP_2)
	v_add_f32_e32 v53, v53, v61
	v_dual_mul_f32 v61, 0xbf52af12, v69 :: v_dual_add_f32 v38, v38, v54
	s_delay_alu instid0(VALU_DEP_1) | instskip(SKIP_2) | instid1(VALU_DEP_2)
	v_fma_f32 v73, 0x3f116cb1, v71, -v61
	v_mul_f32_e32 v54, 0x3eedf032, v69
	v_fmac_f32_e32 v61, 0x3f116cb1, v71
	v_fma_f32 v68, 0x3f62ad3f, v71, -v54
	s_delay_alu instid0(VALU_DEP_2) | instskip(SKIP_2) | instid1(VALU_DEP_4)
	v_dual_add_f32 v61, v61, v64 :: v_dual_add_f32 v50, v56, v50
	v_mul_f32_e32 v56, 0x3eedf032, v34
	v_sub_f32_e32 v64, v25, v31
	v_dual_add_f32 v60, v68, v63 :: v_dual_add_f32 v25, v31, v25
	s_delay_alu instid0(VALU_DEP_3) | instskip(SKIP_1) | instid1(VALU_DEP_2)
	v_fmamk_f32 v63, v35, 0x3f62ad3f, v56
	v_fma_f32 v56, 0x3f62ad3f, v35, -v56
	v_add_f32_e32 v63, v63, v65
	s_delay_alu instid0(VALU_DEP_2) | instskip(SKIP_3) | instid1(VALU_DEP_4)
	v_dual_mul_f32 v65, 0xbf29c268, v69 :: v_dual_add_f32 v56, v56, v59
	v_add_f32_e32 v59, v73, v67
	v_fmac_f32_e32 v54, 0x3f62ad3f, v71
	v_sub_f32_e32 v73, v21, v23
	v_fma_f32 v67, 0xbf3f9e67, v71, -v65
	v_fmac_f32_e32 v65, 0xbf3f9e67, v71
	v_mul_f32_e32 v68, 0xbf52af12, v34
	v_add_f32_e32 v54, v54, v58
	v_dual_mul_f32 v34, 0xbf29c268, v34 :: v_dual_add_f32 v21, v23, v21
	v_sub_f32_e32 v20, v20, v22
	s_delay_alu instid0(VALU_DEP_4) | instskip(NEXT) | instid1(VALU_DEP_1)
	v_fmamk_f32 v58, v35, 0x3f116cb1, v68
	v_dual_mul_f32 v23, 0xbe750f2a, v20 :: v_dual_add_f32 v58, v58, v62
	v_fma_f32 v62, 0x3f116cb1, v35, -v68
	s_delay_alu instid0(VALU_DEP_1) | instskip(SKIP_4) | instid1(VALU_DEP_3)
	v_add_f32_e32 v62, v62, v66
	v_dual_add_f32 v66, v67, v70 :: v_dual_add_f32 v67, v30, v24
	v_sub_f32_e32 v24, v24, v30
	v_fma_f32 v30, 0xbf3f9e67, v35, -v34
	v_fmamk_f32 v68, v35, 0xbf3f9e67, v34
	v_mul_f32_e32 v31, 0xbf6f5d39, v24
	s_delay_alu instid0(VALU_DEP_3) | instskip(SKIP_2) | instid1(VALU_DEP_1)
	v_dual_add_f32 v30, v30, v32 :: v_dual_add_f32 v35, v65, v37
	v_mul_f32_e32 v37, 0x3f29c268, v24
	v_mul_f32_e32 v69, 0xbf6f5d39, v64
	v_fma_f32 v34, 0xbeb58ec6, v67, -v69
	s_delay_alu instid0(VALU_DEP_1) | instskip(SKIP_3) | instid1(VALU_DEP_3)
	v_dual_fmac_f32 v69, 0xbeb58ec6, v67 :: v_dual_add_f32 v32, v34, v33
	v_mul_f32_e32 v33, 0x3f29c268, v64
	v_fmamk_f32 v34, v25, 0xbeb58ec6, v31
	v_fma_f32 v31, 0xbeb58ec6, v25, -v31
	v_fma_f32 v65, 0xbf3f9e67, v67, -v33
	s_delay_alu instid0(VALU_DEP_3) | instskip(SKIP_1) | instid1(VALU_DEP_4)
	v_add_f32_e32 v34, v34, v44
	v_add_f32_e32 v44, v69, v52
	v_dual_add_f32 v31, v31, v36 :: v_dual_fmamk_f32 v36, v25, 0xbf3f9e67, v37
	s_delay_alu instid0(VALU_DEP_4) | instskip(SKIP_2) | instid1(VALU_DEP_4)
	v_dual_add_f32 v52, v65, v55 :: v_dual_mul_f32 v55, 0x3eedf032, v64
	v_fmac_f32_e32 v33, 0xbf3f9e67, v67
	v_fma_f32 v37, 0xbf3f9e67, v25, -v37
	v_dual_add_f32 v36, v36, v39 :: v_dual_mul_f32 v39, 0x3eedf032, v24
	s_delay_alu instid0(VALU_DEP_4) | instskip(SKIP_1) | instid1(VALU_DEP_4)
	v_fma_f32 v65, 0x3f62ad3f, v67, -v55
	v_dual_fmac_f32 v55, 0x3f62ad3f, v67 :: v_dual_add_f32 v68, v68, v72
	v_add_f32_e32 v37, v37, v45
	v_dual_add_f32 v33, v33, v38 :: v_dual_mul_f32 v38, 0xbf7e222b, v64
	s_delay_alu instid0(VALU_DEP_4)
	v_add_f32_e32 v51, v65, v51
	v_fmamk_f32 v45, v25, 0x3f62ad3f, v39
	v_add_f32_e32 v55, v55, v57
	v_mul_f32_e32 v57, 0x3e750f2a, v64
	v_fma_f32 v39, 0x3f62ad3f, v25, -v39
	v_fma_f32 v65, 0x3df6dbef, v67, -v38
	v_dual_add_f32 v45, v45, v50 :: v_dual_fmac_f32 v38, 0x3df6dbef, v67
	s_delay_alu instid0(VALU_DEP_4) | instskip(SKIP_2) | instid1(VALU_DEP_4)
	v_fma_f32 v69, 0xbf788fa5, v67, -v57
	v_fmac_f32_e32 v57, 0xbf788fa5, v67
	v_dual_mul_f32 v50, 0xbf7e222b, v24 :: v_dual_add_f32 v39, v39, v53
	v_dual_add_f32 v53, v65, v60 :: v_dual_add_f32 v38, v38, v54
	s_delay_alu instid0(VALU_DEP_3) | instskip(NEXT) | instid1(VALU_DEP_3)
	v_add_f32_e32 v57, v57, v61
	v_dual_fmamk_f32 v60, v25, 0x3df6dbef, v50 :: v_dual_sub_f32 v61, v27, v29
	v_fma_f32 v50, 0x3df6dbef, v25, -v50
	v_mul_f32_e32 v65, 0x3e750f2a, v24
	v_mul_f32_e32 v24, 0x3f52af12, v24
	s_delay_alu instid0(VALU_DEP_4) | instskip(NEXT) | instid1(VALU_DEP_4)
	v_add_f32_e32 v60, v60, v63
	v_add_f32_e32 v50, v50, v56
	v_dual_add_f32 v56, v69, v59 :: v_dual_mul_f32 v59, 0x3f52af12, v64
	s_delay_alu instid0(VALU_DEP_4) | instskip(SKIP_1) | instid1(VALU_DEP_3)
	v_fmamk_f32 v64, v25, 0x3f116cb1, v24
	v_fma_f32 v24, 0x3f116cb1, v25, -v24
	v_fma_f32 v63, 0x3f116cb1, v67, -v59
	v_fmac_f32_e32 v59, 0x3f116cb1, v67
	v_fmamk_f32 v54, v25, 0xbf788fa5, v65
	s_delay_alu instid0(VALU_DEP_1) | instskip(SKIP_3) | instid1(VALU_DEP_3)
	v_add_f32_e32 v54, v54, v58
	v_fma_f32 v58, 0xbf788fa5, v25, -v65
	v_mul_f32_e32 v65, 0xbf29c268, v61
	v_dual_add_f32 v25, v29, v27 :: v_dual_add_f32 v24, v24, v30
	v_dual_add_f32 v29, v59, v35 :: v_dual_add_f32 v58, v58, v62
	;; [unrolled: 1-line block ×3, first 2 shown]
	v_add_f32_e32 v64, v28, v26
	v_sub_f32_e32 v26, v26, v28
	v_mul_f32_e32 v30, 0x3f7e222b, v61
	s_delay_alu instid0(VALU_DEP_3) | instskip(NEXT) | instid1(VALU_DEP_3)
	v_fma_f32 v27, 0xbf3f9e67, v64, -v65
	v_mul_f32_e32 v59, 0x3f7e222b, v26
	v_mul_f32_e32 v28, 0xbf29c268, v26
	s_delay_alu instid0(VALU_DEP_4) | instskip(NEXT) | instid1(VALU_DEP_2)
	v_fma_f32 v35, 0x3df6dbef, v64, -v30
	v_dual_add_f32 v27, v27, v32 :: v_dual_fmamk_f32 v32, v25, 0xbf3f9e67, v28
	v_fma_f32 v28, 0xbf3f9e67, v25, -v28
	s_delay_alu instid0(VALU_DEP_1) | instskip(SKIP_4) | instid1(VALU_DEP_3)
	v_dual_add_f32 v28, v28, v31 :: v_dual_add_f32 v31, v35, v52
	v_fmac_f32_e32 v65, 0xbf3f9e67, v64
	v_dual_fmamk_f32 v35, v25, 0x3df6dbef, v59 :: v_dual_fmac_f32 v30, 0x3df6dbef, v64
	v_fma_f32 v52, 0x3df6dbef, v25, -v59
	v_mul_f32_e32 v59, 0xbf52af12, v26
	v_dual_add_f32 v35, v35, v36 :: v_dual_add_f32 v30, v30, v33
	s_delay_alu instid0(VALU_DEP_3) | instskip(NEXT) | instid1(VALU_DEP_3)
	v_add_f32_e32 v33, v52, v37
	v_dual_fmamk_f32 v37, v25, 0x3f116cb1, v59 :: v_dual_add_f32 v32, v32, v34
	v_add_f32_e32 v34, v65, v44
	v_mul_f32_e32 v44, 0xbf52af12, v61
	v_mul_f32_e32 v52, 0x3e750f2a, v61
	s_delay_alu instid0(VALU_DEP_4) | instskip(SKIP_1) | instid1(VALU_DEP_4)
	v_add_f32_e32 v37, v37, v45
	v_mul_f32_e32 v22, 0xbe750f2a, v73
	v_fma_f32 v36, 0x3f116cb1, v64, -v44
	s_delay_alu instid0(VALU_DEP_4) | instskip(NEXT) | instid1(VALU_DEP_2)
	v_fma_f32 v45, 0xbf788fa5, v64, -v52
	v_add_f32_e32 v36, v36, v51
	v_fma_f32 v51, 0x3f116cb1, v25, -v59
	s_delay_alu instid0(VALU_DEP_3) | instskip(NEXT) | instid1(VALU_DEP_2)
	v_dual_mul_f32 v59, 0x3e750f2a, v26 :: v_dual_add_f32 v66, v45, v53
	v_dual_add_f32 v39, v51, v39 :: v_dual_fmac_f32 v44, 0x3f116cb1, v64
	s_delay_alu instid0(VALU_DEP_2) | instskip(SKIP_1) | instid1(VALU_DEP_3)
	v_fmamk_f32 v45, v25, 0xbf788fa5, v59
	v_fma_f32 v51, 0xbf788fa5, v25, -v59
	v_dual_add_f32 v65, v44, v55 :: v_dual_mul_f32 v44, 0x3eedf032, v61
	v_mul_f32_e32 v55, 0x3eedf032, v26
	s_delay_alu instid0(VALU_DEP_3) | instskip(SKIP_1) | instid1(VALU_DEP_4)
	v_dual_add_f32 v67, v45, v60 :: v_dual_add_f32 v68, v51, v50
	v_mul_f32_e32 v26, 0xbf6f5d39, v26
	v_fma_f32 v53, 0x3f62ad3f, v64, -v44
	s_delay_alu instid0(VALU_DEP_4) | instskip(SKIP_1) | instid1(VALU_DEP_3)
	v_fmamk_f32 v45, v25, 0x3f62ad3f, v55
	v_fma_f32 v51, 0x3f62ad3f, v25, -v55
	v_add_f32_e32 v69, v53, v56
	v_fmac_f32_e32 v44, 0x3f62ad3f, v64
	v_fmac_f32_e32 v52, 0xbf788fa5, v64
	v_add_f32_e32 v70, v45, v54
	s_delay_alu instid0(VALU_DEP_3) | instskip(NEXT) | instid1(VALU_DEP_3)
	v_dual_add_f32 v72, v51, v58 :: v_dual_add_f32 v71, v44, v57
	v_add_f32_e32 v38, v52, v38
	v_fmamk_f32 v44, v21, 0xbf788fa5, v23
	v_mul_f32_e32 v50, 0xbf6f5d39, v61
	v_fma_f32 v23, 0xbf788fa5, v21, -v23
	v_fmamk_f32 v52, v25, 0xbeb58ec6, v26
	v_fma_f32 v25, 0xbeb58ec6, v25, -v26
	v_fma_f32 v26, 0xbf788fa5, v77, -v22
	v_add_f32_e32 v53, v44, v32
	v_fma_f32 v45, 0xbeb58ec6, v64, -v50
	s_delay_alu instid0(VALU_DEP_4) | instskip(NEXT) | instid1(VALU_DEP_2)
	v_dual_add_f32 v24, v25, v24 :: v_dual_mul_f32 v25, 0x3eedf032, v73
	v_dual_add_f32 v74, v45, v62 :: v_dual_add_f32 v45, v23, v28
	v_add_f32_e32 v75, v52, v63
	v_add_f32_e32 v52, v26, v27
	s_delay_alu instid0(VALU_DEP_4) | instskip(SKIP_1) | instid1(VALU_DEP_2)
	v_fma_f32 v26, 0x3f62ad3f, v77, -v25
	v_mul_f32_e32 v27, 0x3eedf032, v20
	v_dual_fmac_f32 v25, 0x3f62ad3f, v77 :: v_dual_add_f32 v54, v26, v31
	s_delay_alu instid0(VALU_DEP_2) | instskip(SKIP_2) | instid1(VALU_DEP_3)
	v_fmamk_f32 v23, v21, 0x3f62ad3f, v27
	v_fma_f32 v26, 0x3f62ad3f, v21, -v27
	v_mul_f32_e32 v27, 0xbf29c268, v20
	v_dual_fmac_f32 v50, 0xbeb58ec6, v64 :: v_dual_add_f32 v55, v23, v35
	s_delay_alu instid0(VALU_DEP_3) | instskip(NEXT) | instid1(VALU_DEP_3)
	v_add_f32_e32 v51, v26, v33
	v_fma_f32 v26, 0xbf3f9e67, v21, -v27
	v_fmac_f32_e32 v22, 0xbf788fa5, v77
	v_fmamk_f32 v23, v21, 0xbf3f9e67, v27
	v_dual_add_f32 v29, v50, v29 :: v_dual_add_f32 v50, v25, v30
	s_delay_alu instid0(VALU_DEP_4) | instskip(NEXT) | instid1(VALU_DEP_3)
	v_add_f32_e32 v57, v26, v39
	v_dual_add_f32 v44, v22, v34 :: v_dual_add_f32 v59, v23, v37
	v_mul_f32_e32 v23, 0x3f52af12, v20
	v_mul_f32_e32 v25, 0x3f52af12, v73
	s_delay_alu instid0(VALU_DEP_2) | instskip(NEXT) | instid1(VALU_DEP_1)
	v_fmamk_f32 v27, v21, 0x3f116cb1, v23
	v_dual_mul_f32 v22, 0xbf29c268, v73 :: v_dual_add_f32 v61, v27, v67
	s_delay_alu instid0(VALU_DEP_1) | instskip(SKIP_1) | instid1(VALU_DEP_2)
	v_fma_f32 v28, 0xbf3f9e67, v77, -v22
	v_fmac_f32_e32 v22, 0xbf3f9e67, v77
	v_add_f32_e32 v58, v28, v36
	s_delay_alu instid0(VALU_DEP_2) | instskip(SKIP_1) | instid1(VALU_DEP_1)
	v_add_f32_e32 v56, v22, v65
	v_fma_f32 v22, 0x3f116cb1, v77, -v25
	v_dual_fmac_f32 v25, 0x3f116cb1, v77 :: v_dual_add_f32 v60, v22, v66
	v_fma_f32 v22, 0x3f116cb1, v21, -v23
	v_mul_f32_e32 v26, 0xbf6f5d39, v73
	s_delay_alu instid0(VALU_DEP_3) | instskip(SKIP_1) | instid1(VALU_DEP_4)
	v_dual_add_f32 v62, v25, v38 :: v_dual_mul_f32 v25, 0xbf6f5d39, v20
	v_mul_f32_e32 v20, 0x3f7e222b, v20
	v_add_f32_e32 v63, v22, v68
	s_delay_alu instid0(VALU_DEP_4) | instskip(SKIP_1) | instid1(VALU_DEP_2)
	v_fma_f32 v23, 0xbeb58ec6, v77, -v26
	v_fmac_f32_e32 v26, 0xbeb58ec6, v77
	v_dual_add_f32 v64, v23, v69 :: v_dual_fmamk_f32 v23, v21, 0xbeb58ec6, v25
	v_fma_f32 v25, 0xbeb58ec6, v21, -v25
	s_delay_alu instid0(VALU_DEP_2) | instskip(NEXT) | instid1(VALU_DEP_2)
	v_dual_mul_f32 v22, 0x3f7e222b, v73 :: v_dual_add_f32 v65, v23, v70
	v_add_f32_e32 v67, v25, v72
	s_delay_alu instid0(VALU_DEP_2)
	v_fma_f32 v27, 0x3df6dbef, v77, -v22
	v_sub_f32_e32 v23, v3, v49
	v_sub_f32_e32 v25, v2, v48
	v_add_f32_e32 v66, v26, v71
	v_fmamk_f32 v28, v21, 0x3df6dbef, v20
	v_add_f32_e32 v68, v27, v74
	v_add_f32_e32 v74, v48, v2
	v_mul_f32_e32 v26, 0xbf52af12, v23
	v_fma_f32 v20, 0x3df6dbef, v21, -v20
	v_mul_f32_e32 v35, 0xbf29c268, v23
	v_dual_mul_f32 v72, 0xbeedf032, v23 :: v_dual_mul_f32 v73, 0xbeedf032, v25
	s_delay_alu instid0(VALU_DEP_4) | instskip(NEXT) | instid1(VALU_DEP_4)
	v_fma_f32 v27, 0x3f116cb1, v74, -v26
	v_add_f32_e32 v71, v20, v24
	v_add_f32_e32 v69, v28, v75
	;; [unrolled: 1-line block ×3, first 2 shown]
	s_delay_alu instid0(VALU_DEP_4) | instskip(SKIP_3) | instid1(VALU_DEP_4)
	v_dual_mul_f32 v33, 0xbf6f5d39, v25 :: v_dual_add_f32 v24, v27, v0
	v_mul_f32_e32 v27, 0xbf7e222b, v23
	v_fma_f32 v37, 0xbf3f9e67, v74, -v35
	v_mul_f32_e32 v20, 0xbf52af12, v25
	v_fmamk_f32 v36, v75, 0xbeb58ec6, v33
	v_fma_f32 v33, 0xbeb58ec6, v75, -v33
	v_fma_f32 v30, 0x3df6dbef, v74, -v27
	s_delay_alu instid0(VALU_DEP_4) | instskip(SKIP_1) | instid1(VALU_DEP_3)
	v_dual_add_f32 v37, v37, v0 :: v_dual_fmamk_f32 v28, v75, 0x3f116cb1, v20
	v_fmamk_f32 v21, v74, 0x3f62ad3f, v72
	v_dual_fmac_f32 v27, 0x3df6dbef, v74 :: v_dual_add_f32 v30, v30, v0
	v_fma_f32 v20, 0x3f116cb1, v75, -v20
	s_delay_alu instid0(VALU_DEP_4) | instskip(NEXT) | instid1(VALU_DEP_4)
	v_add_f32_e32 v28, v28, v1
	v_dual_fmac_f32 v22, 0x3df6dbef, v77 :: v_dual_add_f32 v21, v21, v0
	s_delay_alu instid0(VALU_DEP_4) | instskip(SKIP_1) | instid1(VALU_DEP_3)
	v_dual_add_f32 v27, v27, v0 :: v_dual_fmac_f32 v26, 0x3f116cb1, v74
	v_add_f32_e32 v33, v33, v1
	v_add_f32_e32 v70, v22, v29
	v_fma_f32 v22, 0x3f62ad3f, v75, -v73
	v_mul_f32_e32 v38, 0xbf29c268, v25
	v_add_f32_e32 v26, v26, v0
	v_add_f32_e32 v20, v20, v1
	v_mul_f32_e32 v29, 0xbf7e222b, v25
	s_delay_alu instid0(VALU_DEP_4)
	v_dual_add_f32 v22, v22, v1 :: v_dual_fmamk_f32 v39, v75, 0xbf3f9e67, v38
	v_mul_f32_e32 v32, 0xbf6f5d39, v23
	v_mul_f32_e32 v23, 0xbe750f2a, v23
	;; [unrolled: 1-line block ×3, first 2 shown]
	v_fmamk_f32 v31, v75, 0x3df6dbef, v29
	v_add_f32_e32 v39, v39, v1
	v_fma_f32 v34, 0xbeb58ec6, v74, -v32
	v_fma_f32 v77, 0xbf788fa5, v74, -v23
	v_fmamk_f32 v78, v75, 0xbf788fa5, v25
	v_fma_f32 v25, 0xbf788fa5, v75, -v25
	v_fma_f32 v38, 0xbf3f9e67, v75, -v38
	v_dual_add_f32 v34, v34, v0 :: v_dual_fmac_f32 v35, 0xbf3f9e67, v74
	v_dual_fmac_f32 v32, 0xbeb58ec6, v74 :: v_dual_add_f32 v81, v77, v0
	v_add_f32_e32 v36, v36, v1
	v_dual_add_f32 v82, v78, v1 :: v_dual_mul_f32 v77, 0xbf52af12, v83
	s_delay_alu instid0(VALU_DEP_4) | instskip(NEXT) | instid1(VALU_DEP_4)
	v_add_f32_e32 v35, v35, v0
	v_add_f32_e32 v32, v32, v0
	v_dual_mul_f32 v78, 0xbf52af12, v84 :: v_dual_add_f32 v25, v25, v1
	v_add_f32_e32 v24, v88, v24
	v_fma_f32 v88, 0xbeb58ec6, v80, -v89
	v_add_f32_e32 v31, v31, v1
	s_delay_alu instid0(VALU_DEP_4) | instskip(SKIP_3) | instid1(VALU_DEP_4)
	v_fma_f32 v87, 0x3f116cb1, v80, -v78
	v_dual_add_f32 v38, v38, v1 :: v_dual_fmac_f32 v23, 0xbf788fa5, v74
	v_add_f32_e32 v26, v85, v26
	v_fma_f32 v29, 0x3df6dbef, v75, -v29
	v_dual_add_f32 v22, v87, v22 :: v_dual_fmamk_f32 v87, v80, 0xbeb58ec6, v89
	v_mul_f32_e32 v89, 0xbe750f2a, v84
	v_add_f32_e32 v23, v23, v0
	s_delay_alu instid0(VALU_DEP_4) | instskip(NEXT) | instid1(VALU_DEP_4)
	v_dual_add_f32 v29, v29, v1 :: v_dual_add_f32 v20, v88, v20
	v_dual_add_f32 v28, v87, v28 :: v_dual_mul_f32 v87, 0x3f29c268, v83
	s_delay_alu instid0(VALU_DEP_4) | instskip(SKIP_2) | instid1(VALU_DEP_3)
	v_fmamk_f32 v85, v80, 0xbf788fa5, v89
	v_fmamk_f32 v86, v79, 0x3f116cb1, v77
	v_fma_f32 v88, 0xbf788fa5, v80, -v89
	v_add_f32_e32 v31, v85, v31
	s_delay_alu instid0(VALU_DEP_3) | instskip(NEXT) | instid1(VALU_DEP_3)
	v_dual_add_f32 v21, v86, v21 :: v_dual_mul_f32 v86, 0xbe750f2a, v83
	v_dual_add_f32 v29, v88, v29 :: v_dual_mul_f32 v88, 0x3f7e222b, v83
	s_delay_alu instid0(VALU_DEP_2) | instskip(SKIP_1) | instid1(VALU_DEP_2)
	v_fma_f32 v90, 0xbf788fa5, v79, -v86
	v_fmac_f32_e32 v86, 0xbf788fa5, v79
	v_add_f32_e32 v30, v90, v30
	s_delay_alu instid0(VALU_DEP_2) | instskip(SKIP_3) | instid1(VALU_DEP_2)
	v_add_f32_e32 v27, v86, v27
	v_fma_f32 v86, 0xbf3f9e67, v79, -v87
	v_mul_f32_e32 v85, 0x3f29c268, v84
	v_dual_fmac_f32 v87, 0xbf3f9e67, v79 :: v_dual_sub_f32 v90, v42, v4
	v_dual_add_f32 v34, v86, v34 :: v_dual_fmamk_f32 v89, v80, 0xbf3f9e67, v85
	s_delay_alu instid0(VALU_DEP_2) | instskip(SKIP_4) | instid1(VALU_DEP_4)
	v_add_f32_e32 v32, v87, v32
	v_fma_f32 v85, 0xbf3f9e67, v80, -v85
	v_mul_f32_e32 v87, 0x3f7e222b, v84
	v_fma_f32 v86, 0x3df6dbef, v79, -v88
	v_add_f32_e32 v36, v89, v36
	v_dual_fmac_f32 v88, 0x3df6dbef, v79 :: v_dual_add_f32 v33, v85, v33
	s_delay_alu instid0(VALU_DEP_3) | instskip(SKIP_1) | instid1(VALU_DEP_3)
	v_dual_add_f32 v37, v86, v37 :: v_dual_mul_f32 v86, 0x3eedf032, v84
	v_fma_f32 v84, 0x3df6dbef, v80, -v87
	v_add_f32_e32 v35, v88, v35
	s_delay_alu instid0(VALU_DEP_3) | instskip(NEXT) | instid1(VALU_DEP_3)
	v_fmamk_f32 v89, v80, 0x3f62ad3f, v86
	v_add_f32_e32 v38, v84, v38
	v_add_f32_e32 v84, v5, v43
	v_mul_f32_e32 v85, 0x3eedf032, v83
	s_delay_alu instid0(VALU_DEP_4) | instskip(SKIP_2) | instid1(VALU_DEP_4)
	v_dual_fmamk_f32 v83, v80, 0x3df6dbef, v87 :: v_dual_add_f32 v88, v89, v82
	v_mul_f32_e32 v82, 0xbf7e222b, v90
	v_fma_f32 v86, 0x3f62ad3f, v80, -v86
	v_fma_f32 v87, 0x3f62ad3f, v79, -v85
	s_delay_alu instid0(VALU_DEP_4) | instskip(SKIP_4) | instid1(VALU_DEP_3)
	v_add_f32_e32 v39, v83, v39
	v_sub_f32_e32 v89, v43, v5
	v_fma_f32 v92, 0x3df6dbef, v84, -v82
	v_dual_add_f32 v25, v86, v25 :: v_dual_mul_f32 v86, 0xbe750f2a, v90
	v_add_f32_e32 v87, v87, v81
	v_dual_mul_f32 v91, 0xbe750f2a, v89 :: v_dual_add_f32 v22, v92, v22
	s_delay_alu instid0(VALU_DEP_3) | instskip(SKIP_2) | instid1(VALU_DEP_3)
	v_fmamk_f32 v92, v84, 0xbf788fa5, v86
	v_fma_f32 v86, 0xbf788fa5, v84, -v86
	v_add_f32_e32 v83, v4, v42
	v_dual_fmac_f32 v85, 0x3f62ad3f, v79 :: v_dual_add_f32 v28, v92, v28
	s_delay_alu instid0(VALU_DEP_3) | instskip(NEXT) | instid1(VALU_DEP_3)
	v_add_f32_e32 v20, v86, v20
	v_fma_f32 v93, 0xbf788fa5, v83, -v91
	s_delay_alu instid0(VALU_DEP_1) | instskip(SKIP_2) | instid1(VALU_DEP_3)
	v_dual_fmac_f32 v91, 0xbf788fa5, v83 :: v_dual_add_f32 v24, v93, v24
	v_mul_f32_e32 v93, 0x3f6f5d39, v90
	v_add_f32_e32 v23, v85, v23
	v_dual_mul_f32 v81, 0xbf7e222b, v89 :: v_dual_add_f32 v26, v91, v26
	v_mul_f32_e32 v91, 0x3eedf032, v89
	s_delay_alu instid0(VALU_DEP_4) | instskip(SKIP_1) | instid1(VALU_DEP_2)
	v_fmamk_f32 v86, v84, 0xbeb58ec6, v93
	v_fma_f32 v92, 0xbeb58ec6, v84, -v93
	v_dual_add_f32 v31, v86, v31 :: v_dual_mul_f32 v86, 0x3eedf032, v90
	s_delay_alu instid0(VALU_DEP_2) | instskip(SKIP_1) | instid1(VALU_DEP_3)
	v_add_f32_e32 v29, v92, v29
	v_mul_f32_e32 v92, 0xbf52af12, v89
	v_fmamk_f32 v93, v84, 0x3f62ad3f, v86
	s_delay_alu instid0(VALU_DEP_1) | instskip(NEXT) | instid1(VALU_DEP_1)
	v_dual_fmamk_f32 v85, v83, 0x3df6dbef, v81 :: v_dual_add_f32 v36, v93, v36
	v_add_f32_e32 v21, v85, v21
	v_mul_f32_e32 v85, 0x3f6f5d39, v89
	v_mul_f32_e32 v89, 0xbf29c268, v89
	s_delay_alu instid0(VALU_DEP_2) | instskip(NEXT) | instid1(VALU_DEP_1)
	v_fma_f32 v94, 0xbeb58ec6, v83, -v85
	v_dual_fmac_f32 v85, 0xbeb58ec6, v83 :: v_dual_add_f32 v30, v94, v30
	s_delay_alu instid0(VALU_DEP_1) | instskip(SKIP_2) | instid1(VALU_DEP_2)
	v_add_f32_e32 v27, v85, v27
	v_fma_f32 v85, 0x3f62ad3f, v83, -v91
	v_dual_fmac_f32 v91, 0x3f62ad3f, v83 :: v_dual_sub_f32 v94, v16, v10
	v_add_f32_e32 v34, v85, v34
	s_delay_alu instid0(VALU_DEP_2) | instskip(SKIP_4) | instid1(VALU_DEP_4)
	v_dual_add_f32 v32, v91, v32 :: v_dual_mul_f32 v91, 0xbf52af12, v90
	v_mul_f32_e32 v90, 0xbf29c268, v90
	v_fma_f32 v85, 0x3f62ad3f, v84, -v86
	v_fma_f32 v86, 0x3f116cb1, v83, -v92
	v_fmac_f32_e32 v92, 0x3f116cb1, v83
	v_fmamk_f32 v93, v84, 0xbf3f9e67, v90
	s_delay_alu instid0(VALU_DEP_4) | instskip(NEXT) | instid1(VALU_DEP_4)
	v_add_f32_e32 v33, v85, v33
	v_add_f32_e32 v37, v86, v37
	v_fma_f32 v86, 0x3f116cb1, v84, -v91
	s_delay_alu instid0(VALU_DEP_4) | instskip(SKIP_1) | instid1(VALU_DEP_3)
	v_dual_add_f32 v35, v92, v35 :: v_dual_add_f32 v92, v93, v88
	v_dual_sub_f32 v93, v17, v11 :: v_dual_add_f32 v88, v10, v16
	v_add_f32_e32 v38, v86, v38
	v_mul_f32_e32 v86, 0xbf6f5d39, v94
	v_fma_f32 v90, 0xbf3f9e67, v84, -v90
	s_delay_alu instid0(VALU_DEP_4) | instskip(NEXT) | instid1(VALU_DEP_2)
	v_mul_f32_e32 v95, 0x3f29c268, v93
	v_add_f32_e32 v25, v90, v25
	s_delay_alu instid0(VALU_DEP_2)
	v_fma_f32 v97, 0xbf3f9e67, v88, -v95
	v_fmac_f32_e32 v95, 0xbf3f9e67, v88
	v_fmamk_f32 v85, v84, 0x3f116cb1, v91
	v_fma_f32 v91, 0xbf3f9e67, v83, -v89
	v_mul_f32_e32 v90, 0x3f29c268, v94
	v_add_f32_e32 v24, v97, v24
	v_add_f32_e32 v26, v95, v26
	v_mul_f32_e32 v97, 0x3eedf032, v94
	v_add_f32_e32 v91, v91, v87
	v_add_f32_e32 v87, v11, v17
	;; [unrolled: 1-line block ×3, first 2 shown]
	s_delay_alu instid0(VALU_DEP_2) | instskip(NEXT) | instid1(VALU_DEP_1)
	v_fma_f32 v96, 0xbeb58ec6, v87, -v86
	v_add_f32_e32 v22, v96, v22
	v_fmamk_f32 v96, v87, 0xbf3f9e67, v90
	v_fma_f32 v90, 0xbf3f9e67, v87, -v90
	s_delay_alu instid0(VALU_DEP_2) | instskip(NEXT) | instid1(VALU_DEP_2)
	v_add_f32_e32 v28, v96, v28
	v_add_f32_e32 v20, v90, v20
	v_fmamk_f32 v90, v87, 0x3f62ad3f, v97
	v_fma_f32 v96, 0x3f62ad3f, v87, -v97
	s_delay_alu instid0(VALU_DEP_2) | instskip(SKIP_1) | instid1(VALU_DEP_3)
	v_dual_add_f32 v31, v90, v31 :: v_dual_mul_f32 v90, 0xbf7e222b, v94
	v_mul_f32_e32 v85, 0xbf6f5d39, v93
	v_add_f32_e32 v29, v96, v29
	v_mul_f32_e32 v96, 0x3e750f2a, v93
	v_mul_f32_e32 v95, 0xbf7e222b, v93
	v_fmamk_f32 v97, v87, 0x3df6dbef, v90
	s_delay_alu instid0(VALU_DEP_1) | instskip(NEXT) | instid1(VALU_DEP_1)
	v_dual_fmac_f32 v89, 0xbf3f9e67, v83 :: v_dual_add_f32 v36, v97, v36
	v_add_f32_e32 v23, v89, v23
	v_fmamk_f32 v89, v88, 0xbeb58ec6, v85
	s_delay_alu instid0(VALU_DEP_1) | instskip(SKIP_1) | instid1(VALU_DEP_1)
	v_add_f32_e32 v21, v89, v21
	v_mul_f32_e32 v89, 0x3eedf032, v93
	v_fma_f32 v98, 0x3f62ad3f, v88, -v89
	s_delay_alu instid0(VALU_DEP_1) | instskip(SKIP_3) | instid1(VALU_DEP_2)
	v_add_f32_e32 v30, v98, v30
	v_sub_f32_e32 v98, v18, v8
	v_fmac_f32_e32 v89, 0x3f62ad3f, v88
	v_mul_f32_e32 v93, 0x3f52af12, v93
	v_add_f32_e32 v27, v89, v27
	v_fma_f32 v89, 0x3df6dbef, v88, -v95
	s_delay_alu instid0(VALU_DEP_1) | instskip(SKIP_2) | instid1(VALU_DEP_3)
	v_dual_fmac_f32 v95, 0x3df6dbef, v88 :: v_dual_add_f32 v34, v89, v34
	v_fma_f32 v89, 0x3df6dbef, v87, -v90
	v_fma_f32 v90, 0xbf788fa5, v88, -v96
	v_dual_add_f32 v32, v95, v32 :: v_dual_mul_f32 v95, 0x3e750f2a, v94
	v_mul_f32_e32 v94, 0x3f52af12, v94
	s_delay_alu instid0(VALU_DEP_3) | instskip(NEXT) | instid1(VALU_DEP_3)
	v_dual_fmac_f32 v96, 0xbf788fa5, v88 :: v_dual_add_f32 v37, v90, v37
	v_fma_f32 v90, 0xbf788fa5, v87, -v95
	s_delay_alu instid0(VALU_DEP_2) | instskip(NEXT) | instid1(VALU_DEP_4)
	v_add_f32_e32 v35, v96, v35
	v_fmamk_f32 v97, v87, 0x3f116cb1, v94
	v_fma_f32 v94, 0x3f116cb1, v87, -v94
	s_delay_alu instid0(VALU_DEP_4) | instskip(SKIP_1) | instid1(VALU_DEP_4)
	v_add_f32_e32 v38, v90, v38
	v_mul_f32_e32 v90, 0xbf29c268, v98
	v_add_f32_e32 v96, v97, v92
	v_add_f32_e32 v92, v9, v19
	;; [unrolled: 1-line block ×3, first 2 shown]
	v_fmamk_f32 v89, v87, 0xbf788fa5, v95
	v_fma_f32 v95, 0x3f116cb1, v88, -v93
	v_sub_f32_e32 v97, v19, v9
	v_fma_f32 v100, 0xbf3f9e67, v92, -v90
	v_dual_add_f32 v25, v94, v25 :: v_dual_mul_f32 v94, 0x3f7e222b, v98
	s_delay_alu instid0(VALU_DEP_4) | instskip(SKIP_1) | instid1(VALU_DEP_4)
	v_add_f32_e32 v95, v95, v91
	v_add_f32_e32 v91, v8, v18
	v_dual_mul_f32 v99, 0x3f7e222b, v97 :: v_dual_add_f32 v22, v100, v22
	s_delay_alu instid0(VALU_DEP_4) | instskip(SKIP_1) | instid1(VALU_DEP_3)
	v_fmamk_f32 v100, v92, 0x3df6dbef, v94
	v_fma_f32 v94, 0x3df6dbef, v92, -v94
	v_fma_f32 v101, 0x3df6dbef, v91, -v99
	s_delay_alu instid0(VALU_DEP_3) | instskip(NEXT) | instid1(VALU_DEP_3)
	v_dual_fmac_f32 v99, 0x3df6dbef, v91 :: v_dual_add_f32 v28, v100, v28
	v_add_f32_e32 v20, v94, v20
	s_delay_alu instid0(VALU_DEP_3) | instskip(NEXT) | instid1(VALU_DEP_3)
	v_dual_add_f32 v24, v101, v24 :: v_dual_mul_f32 v101, 0xbf52af12, v98
	v_dual_add_f32 v26, v99, v26 :: v_dual_mul_f32 v99, 0x3e750f2a, v97
	s_delay_alu instid0(VALU_DEP_2) | instskip(SKIP_2) | instid1(VALU_DEP_3)
	v_fmamk_f32 v94, v92, 0x3f116cb1, v101
	v_fma_f32 v100, 0x3f116cb1, v92, -v101
	v_fmac_f32_e32 v93, 0x3f116cb1, v88
	v_dual_add_f32 v31, v94, v31 :: v_dual_mul_f32 v94, 0x3e750f2a, v98
	s_delay_alu instid0(VALU_DEP_3) | instskip(NEXT) | instid1(VALU_DEP_2)
	v_add_f32_e32 v29, v100, v29
	v_dual_add_f32 v23, v93, v23 :: v_dual_fmamk_f32 v100, v92, 0xbf788fa5, v94
	v_add_f32_e32 v39, v89, v39
	s_delay_alu instid0(VALU_DEP_2) | instskip(NEXT) | instid1(VALU_DEP_1)
	v_dual_mul_f32 v89, 0xbf29c268, v97 :: v_dual_add_f32 v36, v100, v36
	v_fmamk_f32 v93, v91, 0xbf3f9e67, v89
	s_delay_alu instid0(VALU_DEP_1) | instskip(SKIP_1) | instid1(VALU_DEP_1)
	v_add_f32_e32 v21, v93, v21
	v_mul_f32_e32 v93, 0xbf52af12, v97
	v_fma_f32 v102, 0x3f116cb1, v91, -v93
	s_delay_alu instid0(VALU_DEP_1) | instskip(NEXT) | instid1(VALU_DEP_1)
	v_dual_add_f32 v30, v102, v30 :: v_dual_fmac_f32 v93, 0x3f116cb1, v91
	v_add_f32_e32 v101, v93, v27
	v_fma_f32 v27, 0xbf788fa5, v91, -v99
	s_delay_alu instid0(VALU_DEP_1) | instskip(SKIP_1) | instid1(VALU_DEP_2)
	v_dual_fmac_f32 v99, 0xbf788fa5, v91 :: v_dual_add_f32 v34, v27, v34
	v_fma_f32 v27, 0xbf788fa5, v92, -v94
	v_dual_add_f32 v99, v99, v32 :: v_dual_mul_f32 v32, 0x3eedf032, v98
	s_delay_alu instid0(VALU_DEP_2) | instskip(NEXT) | instid1(VALU_DEP_1)
	v_dual_add_f32 v100, v27, v33 :: v_dual_mul_f32 v33, 0xbf6f5d39, v98
	v_fmamk_f32 v98, v92, 0xbeb58ec6, v33
	v_mul_f32_e32 v93, 0x3eedf032, v97
	s_delay_alu instid0(VALU_DEP_2) | instskip(NEXT) | instid1(VALU_DEP_2)
	v_dual_mul_f32 v27, 0xbf6f5d39, v97 :: v_dual_add_f32 v98, v98, v96
	v_fma_f32 v94, 0x3f62ad3f, v91, -v93
	s_delay_alu instid0(VALU_DEP_2) | instskip(SKIP_1) | instid1(VALU_DEP_3)
	v_fma_f32 v97, 0xbeb58ec6, v91, -v27
	v_dual_fmac_f32 v27, 0xbeb58ec6, v91 :: v_dual_add_f32 v96, v14, v12
	v_dual_add_f32 v37, v94, v37 :: v_dual_fmamk_f32 v94, v92, 0x3f62ad3f, v32
	s_delay_alu instid0(VALU_DEP_2) | instskip(NEXT) | instid1(VALU_DEP_4)
	v_add_f32_e32 v105, v27, v23
	v_add_f32_e32 v97, v97, v95
	v_fmac_f32_e32 v93, 0x3f62ad3f, v91
	v_fma_f32 v32, 0x3f62ad3f, v92, -v32
	v_add_f32_e32 v95, v15, v13
	v_dual_add_f32 v39, v94, v39 :: v_dual_mul_f32 v94, 0xbe750f2a, v104
	s_delay_alu instid0(VALU_DEP_4) | instskip(NEXT) | instid1(VALU_DEP_4)
	v_add_f32_e32 v102, v93, v35
	v_dual_mul_f32 v93, 0xbe750f2a, v103 :: v_dual_add_f32 v38, v32, v38
	v_mul_f32_e32 v35, 0x3eedf032, v104
	v_mul_f32_e32 v23, 0x3eedf032, v103
	v_fma_f32 v27, 0xbeb58ec6, v92, -v33
	s_delay_alu instid0(VALU_DEP_4) | instskip(SKIP_1) | instid1(VALU_DEP_4)
	v_fmamk_f32 v32, v96, 0xbf788fa5, v93
	v_fma_f32 v33, 0xbf788fa5, v95, -v94
	v_fma_f32 v106, 0x3f62ad3f, v96, -v23
	s_delay_alu instid0(VALU_DEP_4) | instskip(NEXT) | instid1(VALU_DEP_4)
	v_add_f32_e32 v107, v27, v25
	v_add_f32_e32 v157, v32, v21
	v_fmamk_f32 v21, v95, 0x3f62ad3f, v35
	v_mul_f32_e32 v32, 0xbf29c268, v103
	v_fmac_f32_e32 v23, 0x3f62ad3f, v96
	v_fma_f32 v27, 0x3f62ad3f, v95, -v35
	v_mul_f32_e32 v35, 0x3f52af12, v103
	v_add_f32_e32 v25, v21, v28
	v_mul_f32_e32 v21, 0xbf29c268, v104
	v_fma_f32 v28, 0xbf3f9e67, v96, -v32
	v_add_f32_e32 v158, v33, v22
	v_add_f32_e32 v22, v23, v26
	;; [unrolled: 1-line block ×3, first 2 shown]
	v_fmamk_f32 v20, v95, 0xbf3f9e67, v21
	v_add_f32_e32 v26, v28, v30
	v_fmac_f32_e32 v32, 0xbf3f9e67, v96
	v_fma_f32 v21, 0xbf3f9e67, v95, -v21
	v_fma_f32 v28, 0x3f116cb1, v96, -v35
	v_dual_mul_f32 v30, 0x3f52af12, v104 :: v_dual_add_f32 v27, v20, v31
	s_delay_alu instid0(VALU_DEP_4) | instskip(NEXT) | instid1(VALU_DEP_3)
	v_add_f32_e32 v20, v32, v101
	v_dual_add_f32 v21, v21, v29 :: v_dual_add_f32 v32, v28, v34
	v_mul_f32_e32 v28, 0xbf6f5d39, v103
	s_delay_alu instid0(VALU_DEP_4)
	v_fmamk_f32 v29, v95, 0x3f116cb1, v30
	v_mul_f32_e32 v101, 0xbf6f5d39, v104
	v_fmac_f32_e32 v35, 0x3f116cb1, v96
	v_fma_f32 v31, 0x3f116cb1, v95, -v30
	v_fma_f32 v34, 0xbeb58ec6, v96, -v28
	v_fmac_f32_e32 v28, 0xbeb58ec6, v96
	v_add_f32_e32 v33, v29, v36
	v_fmamk_f32 v29, v95, 0xbeb58ec6, v101
	v_fma_f32 v36, 0xbeb58ec6, v95, -v101
	v_add_f32_e32 v30, v35, v99
	v_dual_add_f32 v34, v34, v37 :: v_dual_mul_f32 v37, 0x3f7e222b, v104
	s_delay_alu instid0(VALU_DEP_4)
	v_add_f32_e32 v35, v29, v39
	v_mul_f32_e32 v39, 0x3f7e222b, v103
	v_add_f32_e32 v29, v36, v38
	v_mul_lo_u16 v36, v162, 13
	v_add_f32_e32 v31, v31, v100
	v_fmamk_f32 v99, v95, 0x3df6dbef, v37
	v_fma_f32 v38, 0x3df6dbef, v96, -v39
	v_fmac_f32_e32 v39, 0x3df6dbef, v96
	v_fma_f32 v100, 0x3df6dbef, v95, -v37
	v_and_b32_e32 v101, 0xffff, v36
	v_add_f32_e32 v24, v106, v24
	v_add_f32_e32 v28, v28, v102
	v_dual_add_f32 v36, v38, v97 :: v_dual_add_f32 v37, v99, v98
	v_dual_add_f32 v38, v39, v105 :: v_dual_add_f32 v39, v100, v107
	v_lshlrev_b32_e32 v177, 3, v101
	ds_store_2addr_b64 v177, v[46:47], v[52:53] offset1:1
	ds_store_2addr_b64 v177, v[54:55], v[58:59] offset0:2 offset1:3
	ds_store_2addr_b64 v177, v[60:61], v[64:65] offset0:4 offset1:5
	;; [unrolled: 1-line block ×5, first 2 shown]
	ds_store_b64 v177, v[44:45] offset:96
	s_and_saveexec_b32 s2, vcc_lo
	s_cbranch_execz .LBB0_7
; %bb.6:
	v_dual_add_f32 v3, v3, v1 :: v_dual_add_f32 v2, v2, v0
	v_mul_f32_e32 v52, 0xbeb58ec6, v88
	v_dual_mul_f32 v44, 0x3f62ad3f, v74 :: v_dual_mul_f32 v45, 0x3f62ad3f, v75
	s_delay_alu instid0(VALU_DEP_3) | instskip(SKIP_3) | instid1(VALU_DEP_4)
	v_dual_add_f32 v3, v41, v3 :: v_dual_add_f32 v2, v40, v2
	v_mul_f32_e32 v41, 0xbf3f9e67, v91
	v_mul_f32_e32 v53, 0xbf3f9e67, v92
	v_dual_mul_f32 v46, 0x3f116cb1, v79 :: v_dual_mul_f32 v47, 0x3f116cb1, v80
	v_dual_add_f32 v3, v43, v3 :: v_dual_add_f32 v2, v42, v2
	v_mul_f32_e32 v42, 0xbf788fa5, v96
	v_dual_mul_f32 v40, 0xbeb58ec6, v87 :: v_dual_add_f32 v43, v73, v45
	s_delay_alu instid0(VALU_DEP_3) | instskip(NEXT) | instid1(VALU_DEP_4)
	v_add_f32_e32 v3, v17, v3
	v_dual_mul_f32 v45, 0xbf788fa5, v95 :: v_dual_add_f32 v2, v16, v2
	s_delay_alu instid0(VALU_DEP_3) | instskip(NEXT) | instid1(VALU_DEP_3)
	v_dual_sub_f32 v16, v44, v72 :: v_dual_add_f32 v1, v43, v1
	v_add_f32_e32 v3, v19, v3
	v_add_f32_e32 v17, v78, v47
	s_delay_alu instid0(VALU_DEP_4) | instskip(NEXT) | instid1(VALU_DEP_4)
	v_add_f32_e32 v2, v18, v2
	v_add_f32_e32 v0, v16, v0
	s_delay_alu instid0(VALU_DEP_4) | instskip(NEXT) | instid1(VALU_DEP_3)
	v_dual_sub_f32 v16, v46, v77 :: v_dual_add_f32 v3, v13, v3
	v_dual_add_f32 v1, v17, v1 :: v_dual_add_f32 v2, v12, v2
	v_dual_mul_f32 v50, 0x3df6dbef, v83 :: v_dual_mul_f32 v51, 0x3df6dbef, v84
	s_delay_alu instid0(VALU_DEP_3) | instskip(NEXT) | instid1(VALU_DEP_3)
	v_dual_add_f32 v0, v16, v0 :: v_dual_add_f32 v3, v15, v3
	v_add_f32_e32 v2, v14, v2
	s_delay_alu instid0(VALU_DEP_3) | instskip(NEXT) | instid1(VALU_DEP_2)
	v_sub_f32_e32 v13, v50, v81
	v_dual_add_f32 v3, v9, v3 :: v_dual_add_f32 v2, v8, v2
	v_sub_f32_e32 v8, v52, v85
	v_add_f32_e32 v9, v90, v53
	v_add_f32_e32 v12, v82, v51
	s_delay_alu instid0(VALU_DEP_4) | instskip(NEXT) | instid1(VALU_DEP_2)
	v_dual_add_f32 v3, v11, v3 :: v_dual_add_f32 v2, v10, v2
	v_dual_add_f32 v1, v12, v1 :: v_dual_add_f32 v12, v86, v40
	v_add_f32_e32 v0, v13, v0
	s_delay_alu instid0(VALU_DEP_3) | instskip(SKIP_1) | instid1(VALU_DEP_4)
	v_dual_add_f32 v3, v5, v3 :: v_dual_add_f32 v2, v4, v2
	v_sub_f32_e32 v5, v42, v93
	v_add_f32_e32 v1, v12, v1
	s_delay_alu instid0(VALU_DEP_4) | instskip(NEXT) | instid1(VALU_DEP_4)
	v_add_f32_e32 v0, v8, v0
	v_dual_sub_f32 v8, v41, v89 :: v_dual_add_f32 v3, v7, v3
	v_add_f32_e32 v4, v94, v45
	s_delay_alu instid0(VALU_DEP_2) | instskip(NEXT) | instid1(VALU_DEP_3)
	v_dual_add_f32 v1, v9, v1 :: v_dual_add_f32 v0, v8, v0
	v_dual_add_f32 v3, v49, v3 :: v_dual_add_f32 v2, v6, v2
	s_delay_alu instid0(VALU_DEP_2) | instskip(NEXT) | instid1(VALU_DEP_3)
	v_dual_add_f32 v1, v4, v1 :: v_dual_lshlrev_b32 v4, 3, v163
	v_add_f32_e32 v0, v5, v0
	s_delay_alu instid0(VALU_DEP_3)
	v_add_f32_e32 v2, v48, v2
	ds_store_2addr_b64 v4, v[2:3], v[0:1] offset1:1
	ds_store_2addr_b64 v4, v[24:25], v[26:27] offset0:2 offset1:3
	ds_store_2addr_b64 v4, v[32:33], v[34:35] offset0:4 offset1:5
	;; [unrolled: 1-line block ×5, first 2 shown]
	ds_store_b64 v4, v[157:158] offset:96
.LBB0_7:
	s_wait_alu 0xfffe
	s_or_b32 exec_lo, exec_lo, s2
	v_and_b32_e32 v56, 0xff, v162
	v_and_b32_e32 v57, 0xff, v76
	v_add_co_u32 v77, null, 0xea, v162
	v_add_nc_u32_e32 v61, 0x1d4, v162
	s_delay_alu instid0(VALU_DEP_4) | instskip(NEXT) | instid1(VALU_DEP_4)
	v_mul_lo_u16 v0, 0x4f, v56
	v_mul_lo_u16 v1, 0x4f, v57
	s_delay_alu instid0(VALU_DEP_4)
	v_and_b32_e32 v62, 0xffff, v77
	global_wb scope:SCOPE_SE
	s_wait_dscnt 0x0
	v_and_b32_e32 v64, 0xffff, v61
	v_lshrrev_b16 v75, 10, v0
	v_lshrrev_b16 v78, 10, v1
	v_mul_u32_u24_e32 v1, 0x4ec5, v62
	s_barrier_signal -1
	s_barrier_wait -1
	v_mul_lo_u16 v0, v75, 13
	v_mul_lo_u16 v2, v78, 13
	v_lshrrev_b32_e32 v79, 18, v1
	global_inv scope:SCOPE_SE
	v_mul_lo_u16 v88, 0xa5, v57
	v_sub_nc_u16 v0, v162, v0
	v_sub_nc_u16 v1, v76, v2
	v_mul_u32_u24_e32 v2, 0x4ec5, v64
	s_delay_alu instid0(VALU_DEP_4) | instskip(NEXT) | instid1(VALU_DEP_4)
	v_lshrrev_b16 v88, 8, v88
	v_and_b32_e32 v81, 0xff, v0
	v_mul_lo_u16 v0, v79, 13
	s_delay_alu instid0(VALU_DEP_4) | instskip(NEXT) | instid1(VALU_DEP_4)
	v_lshrrev_b32_e32 v83, 18, v2
	v_sub_nc_u16 v93, v76, v88
	s_delay_alu instid0(VALU_DEP_4) | instskip(NEXT) | instid1(VALU_DEP_4)
	v_lshlrev_b32_e32 v2, 4, v81
	v_sub_nc_u16 v84, v77, v0
	s_delay_alu instid0(VALU_DEP_3) | instskip(SKIP_3) | instid1(VALU_DEP_2)
	v_lshrrev_b16 v93, 1, v93
	global_load_b128 v[16:19], v2, s[0:1]
	v_and_b32_e32 v82, 0xff, v1
	v_add_nc_u32_e32 v60, 0x15f, v162
	v_lshlrev_b32_e32 v0, 4, v82
	global_load_b128 v[12:15], v0, s[0:1]
	v_and_b32_e32 v63, 0xffff, v60
	s_delay_alu instid0(VALU_DEP_1) | instskip(NEXT) | instid1(VALU_DEP_1)
	v_mul_u32_u24_e32 v3, 0x4ec5, v63
	v_lshrrev_b32_e32 v80, 18, v3
	v_mul_lo_u16 v3, v83, 13
	s_delay_alu instid0(VALU_DEP_2) | instskip(NEXT) | instid1(VALU_DEP_2)
	v_mul_lo_u16 v1, v80, 13
	v_sub_nc_u16 v86, v61, v3
	s_delay_alu instid0(VALU_DEP_2) | instskip(SKIP_1) | instid1(VALU_DEP_3)
	v_sub_nc_u16 v85, v60, v1
	v_lshlrev_b16 v1, 1, v84
	v_lshlrev_b16 v2, 1, v86
	s_delay_alu instid0(VALU_DEP_2) | instskip(NEXT) | instid1(VALU_DEP_1)
	v_and_b32_e32 v1, 0xffff, v1
	v_lshlrev_b32_e32 v1, 3, v1
	global_load_b128 v[8:11], v1, s[0:1]
	v_lshlrev_b16 v0, 1, v85
	v_and_b32_e32 v2, 0xffff, v2
	s_delay_alu instid0(VALU_DEP_2) | instskip(NEXT) | instid1(VALU_DEP_2)
	v_and_b32_e32 v0, 0xffff, v0
	v_lshlrev_b32_e32 v1, 3, v2
	s_delay_alu instid0(VALU_DEP_2)
	v_lshlrev_b32_e32 v0, 3, v0
	s_clause 0x1
	global_load_b128 v[4:7], v0, s[0:1]
	global_load_b128 v[0:3], v1, s[0:1]
	v_add_nc_u32_e32 v105, 0xc00, v161
	v_add_nc_u32_e32 v104, 0x2400, v161
	ds_load_2addr_b64 v[40:43], v161 offset1:117
	v_add_nc_u32_e32 v106, 0x1400, v161
	ds_load_b64 v[73:74], v161 offset:13104
	ds_load_2addr_b64 v[44:47], v105 offset0:84 offset1:201
	ds_load_2addr_b64 v[48:51], v104 offset0:18 offset1:135
	;; [unrolled: 1-line block ×3, first 2 shown]
	v_and_b32_e32 v75, 0xffff, v75
	v_and_b32_e32 v93, 0x7f, v93
	;; [unrolled: 1-line block ×3, first 2 shown]
	s_delay_alu instid0(VALU_DEP_3) | instskip(NEXT) | instid1(VALU_DEP_2)
	v_mul_u32_u24_e32 v75, 39, v75
	v_mul_u32_u24_e32 v78, 39, v78
	s_delay_alu instid0(VALU_DEP_1)
	v_add_lshl_u32 v165, v78, v82, 3
	v_mad_u16 v78, v80, 39, v85
	s_wait_loadcnt_dscnt 0x301
	v_mul_f32_e32 v99, v50, v15
	v_mul_u32_u24_e32 v89, 0xa41b, v62
	v_mul_f32_e32 v98, v51, v15
	v_add_lshl_u32 v167, v75, v81, 3
	v_add_nc_u16 v81, v93, v88
	v_mul_f32_e32 v93, v46, v17
	v_lshrrev_b32_e32 v89, 16, v89
	v_mul_lo_u16 v87, 0xa5, v56
	v_mad_u16 v75, v79, 39, v84
	v_mad_u16 v79, v83, 39, v86
	v_fmac_f32_e32 v93, v47, v16
	v_mul_u32_u24_e32 v91, 0xa41b, v64
	v_sub_nc_u16 v94, v77, v89
	v_lshrrev_b16 v87, 8, v87
	s_wait_dscnt 0x0
	v_mul_f32_e32 v97, v52, v13
	v_add_f32_e32 v112, v41, v93
	v_lshrrev_b32_e32 v91, 16, v91
	v_lshrrev_b16 v94, 1, v94
	v_sub_nc_u16 v92, v162, v87
	v_fmac_f32_e32 v97, v53, v12
	v_lshrrev_b16 v81, 5, v81
	v_fmac_f32_e32 v99, v51, v14
	v_add_nc_u16 v82, v94, v89
	v_mul_f32_e32 v94, v49, v19
	v_sub_nc_u16 v96, v61, v91
	v_lshrrev_b16 v92, 1, v92
	v_mul_u32_u24_e32 v64, 0x8c09, v64
	v_lshrrev_b16 v82, 5, v82
	v_mul_u32_u24_e32 v62, 0x8c09, v62
	v_lshrrev_b16 v96, 1, v96
	v_and_b32_e32 v92, 0x7f, v92
	v_lshrrev_b32_e32 v64, 22, v64
	v_add_f32_e32 v117, v43, v97
	v_lshrrev_b32_e32 v62, 22, v62
	v_add_nc_u16 v84, v96, v91
	v_mul_f32_e32 v96, v53, v13
	v_mul_u32_u24_e32 v90, 0xa41b, v63
	v_add_nc_u16 v80, v92, v87
	v_mul_f32_e32 v92, v47, v17
	v_fma_f32 v47, v48, v18, -v94
	v_lshrrev_b16 v84, 5, v84
	v_lshrrev_b32_e32 v90, 16, v90
	v_lshrrev_b16 v80, 5, v80
	v_fma_f32 v46, v46, v16, -v92
	v_add_nc_u32_e32 v107, 0x1c00, v161
	s_wait_loadcnt 0x2
	v_mul_f32_e32 v92, v54, v9
	v_sub_nc_u16 v95, v60, v90
	v_mul_u32_u24_e32 v63, 0x8c09, v63
	v_dual_add_f32 v110, v46, v47 :: v_dual_add_f32 v109, v40, v46
	s_delay_alu instid0(VALU_DEP_4) | instskip(NEXT) | instid1(VALU_DEP_4)
	v_fmac_f32_e32 v92, v55, v8
	v_lshrrev_b16 v95, 1, v95
	v_sub_f32_e32 v113, v46, v47
	s_wait_loadcnt 0x0
	v_mul_f32_e32 v103, v73, v3
	v_mul_f32_e32 v102, v74, v3
	v_fma_f32 v40, -0.5, v110, v40
	v_add_nc_u16 v83, v95, v90
	v_mul_f32_e32 v95, v48, v19
	v_fma_f32 v48, v52, v12, -v96
	v_fmac_f32_e32 v103, v74, v2
	v_lshrrev_b32_e32 v63, 22, v63
	v_lshrrev_b16 v83, 5, v83
	v_dual_fmac_f32 v95, v49, v18 :: v_dual_add_nc_u32 v108, 0x400, v161
	v_add_nc_u32_e32 v120, 0x2800, v161
	v_fma_f32 v49, v50, v14, -v98
	s_delay_alu instid0(VALU_DEP_3)
	v_dual_sub_f32 v111, v93, v95 :: v_dual_and_b32 v78, 0xffff, v78
	v_add_f32_e32 v93, v93, v95
	ds_load_2addr_b64 v[56:59], v108 offset0:106 offset1:223
	ds_load_2addr_b64 v[65:68], v120 offset0:124 offset1:241
	;; [unrolled: 1-line block ×3, first 2 shown]
	v_add_f32_e32 v115, v48, v49
	v_and_b32_e32 v75, 0xffff, v75
	v_and_b32_e32 v79, 0xffff, v79
	v_lshlrev_b32_e32 v166, 3, v78
	v_and_b32_e32 v78, 7, v81
	v_mul_lo_u16 v81, v84, 39
	v_mul_f32_e32 v50, v55, v9
	v_add_f32_e32 v114, v42, v48
	v_fma_f32 v41, -0.5, v93, v41
	v_mul_lo_u16 v86, v78, 39
	v_sub_nc_u16 v81, v61, v81
	v_fma_f32 v54, v54, v8, -v50
	v_fma_f32 v42, -0.5, v115, v42
	global_wb scope:SCOPE_SE
	s_wait_dscnt 0x0
	v_sub_nc_u16 v86, v76, v86
	v_lshlrev_b16 v89, 4, v81
	s_barrier_signal -1
	s_barrier_wait -1
	v_mul_f32_e32 v94, v65, v11
	v_mul_f32_e32 v52, v70, v5
	v_lshlrev_b32_e32 v168, 3, v75
	v_dual_mul_f32 v100, v72, v1 :: v_dual_and_b32 v75, 7, v80
	v_mul_f32_e32 v96, v69, v5
	v_dual_mul_f32 v101, v71, v1 :: v_dual_lshlrev_b32 v164, 3, v79
	v_mul_lo_u16 v79, v82, 39
	s_delay_alu instid0(VALU_DEP_4) | instskip(NEXT) | instid1(VALU_DEP_3)
	v_mul_lo_u16 v85, v75, 39
	v_dual_sub_f32 v116, v97, v99 :: v_dual_fmac_f32 v101, v72, v0
	v_add_f32_e32 v97, v97, v99
	s_delay_alu instid0(VALU_DEP_4) | instskip(NEXT) | instid1(VALU_DEP_4)
	v_sub_nc_u16 v79, v77, v79
	v_sub_nc_u16 v85, v162, v85
	v_mul_f32_e32 v53, v68, v7
	v_sub_f32_e32 v118, v48, v49
	v_dual_fmac_f32 v94, v66, v10 :: v_dual_fmac_f32 v43, -0.5, v97
	v_lshlrev_b16 v87, 4, v79
	v_and_b32_e32 v85, 0xff, v85
	v_mul_lo_u16 v80, v83, 39
	v_mul_f32_e32 v51, v66, v11
	v_mul_f32_e32 v98, v67, v7
	v_and_b32_e32 v87, 0xffff, v87
	v_fma_f32 v66, v67, v6, -v53
	v_fmamk_f32 v53, v118, 0xbf5db3d7, v43
	v_and_b32_e32 v86, 0xff, v86
	v_sub_nc_u16 v80, v60, v80
	v_and_b32_e32 v89, 0xffff, v89
	v_fma_f32 v55, v65, v10, -v51
	v_fma_f32 v65, v69, v4, -v52
	v_fmac_f32_e32 v96, v70, v4
	v_fmac_f32_e32 v98, v68, v6
	v_dual_add_f32 v46, v109, v47 :: v_dual_fmac_f32 v43, 0x3f5db3d7, v118
	v_add_f32_e32 v47, v112, v95
	v_lshlrev_b32_e32 v91, 4, v86
	v_lshlrev_b16 v88, 4, v80
	v_fma_f32 v67, v71, v0, -v100
	v_fma_f32 v68, v73, v2, -v102
	v_dual_fmamk_f32 v50, v111, 0x3f5db3d7, v40 :: v_dual_sub_f32 v71, v92, v94
	v_dual_fmac_f32 v40, 0xbf5db3d7, v111 :: v_dual_add_f32 v73, v92, v94
	v_add_f32_e32 v72, v57, v92
	v_dual_add_f32 v92, v58, v65 :: v_dual_sub_f32 v109, v101, v103
	v_dual_add_f32 v70, v54, v55 :: v_dual_add_f32 v97, v59, v96
	v_dual_fmamk_f32 v51, v113, 0xbf5db3d7, v41 :: v_dual_lshlrev_b32 v90, 4, v85
	v_dual_fmac_f32 v41, 0x3f5db3d7, v113 :: v_dual_fmamk_f32 v52, v116, 0x3f5db3d7, v42
	v_dual_add_f32 v93, v65, v66 :: v_dual_fmac_f32 v42, 0xbf5db3d7, v116
	v_sub_f32_e32 v95, v96, v98
	v_add_f32_e32 v96, v96, v98
	v_and_b32_e32 v88, 0xffff, v88
	v_dual_add_f32 v48, v114, v49 :: v_dual_add_f32 v69, v56, v54
	v_add_f32_e32 v49, v117, v99
	v_dual_sub_f32 v74, v54, v55 :: v_dual_sub_f32 v99, v65, v66
	v_add_f32_e32 v110, v45, v101
	v_add_f32_e32 v101, v101, v103
	v_fmac_f32_e32 v59, -0.5, v96
	v_dual_add_f32 v65, v92, v66 :: v_dual_add_f32 v102, v67, v68
	v_fma_f32 v56, -0.5, v70, v56
	v_fma_f32 v57, -0.5, v73, v57
	v_dual_add_f32 v100, v44, v67 :: v_dual_sub_f32 v111, v67, v68
	v_fma_f32 v58, -0.5, v93, v58
	v_dual_add_f32 v54, v69, v55 :: v_dual_add_f32 v55, v72, v94
	s_delay_alu instid0(VALU_DEP_3)
	v_dual_add_f32 v67, v100, v68 :: v_dual_add_f32 v66, v97, v98
	v_fmac_f32_e32 v45, -0.5, v101
	v_fma_f32 v44, -0.5, v102, v44
	global_inv scope:SCOPE_SE
	ds_store_2addr_b64 v167, v[46:47], v[50:51] offset1:13
	ds_store_b64 v167, v[40:41] offset:208
	ds_store_2addr_b64 v165, v[48:49], v[52:53] offset1:13
	ds_store_b64 v165, v[42:43] offset:208
	v_fmamk_f32 v40, v71, 0x3f5db3d7, v56
	v_dual_fmac_f32 v56, 0xbf5db3d7, v71 :: v_dual_fmamk_f32 v41, v74, 0xbf5db3d7, v57
	v_dual_add_f32 v68, v110, v103 :: v_dual_fmac_f32 v57, 0x3f5db3d7, v74
	v_fmamk_f32 v42, v95, 0x3f5db3d7, v58
	v_dual_fmac_f32 v58, 0xbf5db3d7, v95 :: v_dual_fmamk_f32 v43, v99, 0xbf5db3d7, v59
	v_dual_fmac_f32 v59, 0x3f5db3d7, v99 :: v_dual_fmamk_f32 v46, v109, 0x3f5db3d7, v44
	v_dual_fmac_f32 v44, 0xbf5db3d7, v109 :: v_dual_lshlrev_b32 v95, 4, v162
	v_fmamk_f32 v47, v111, 0xbf5db3d7, v45
	v_fmac_f32_e32 v45, 0x3f5db3d7, v111
	ds_store_2addr_b64 v168, v[54:55], v[40:41] offset1:13
	ds_store_b64 v168, v[56:57] offset:208
	ds_store_2addr_b64 v166, v[65:66], v[42:43] offset1:13
	ds_store_b64 v166, v[58:59] offset:208
	;; [unrolled: 2-line block ×3, first 2 shown]
	global_wb scope:SCOPE_SE
	s_wait_dscnt 0x0
	s_barrier_signal -1
	s_barrier_wait -1
	global_inv scope:SCOPE_SE
	s_clause 0x1
	global_load_b128 v[56:59], v90, s[0:1] offset:208
	global_load_b128 v[52:55], v91, s[0:1] offset:208
	v_add_co_u32 v40, s2, s0, v87
	s_wait_alu 0xf1ff
	v_add_co_ci_u32_e64 v41, null, s1, 0, s2
	v_add_co_u32 v42, s2, s0, v88
	s_wait_alu 0xf1ff
	v_add_co_ci_u32_e64 v43, null, s1, 0, s2
	global_load_b128 v[48:51], v[40:41], off offset:208
	v_add_co_u32 v40, s2, s0, v89
	s_wait_alu 0xf1ff
	v_add_co_ci_u32_e64 v41, null, s1, 0, s2
	s_clause 0x1
	global_load_b128 v[44:47], v[42:43], off offset:208
	global_load_b128 v[40:43], v[40:41], off offset:208
	v_mul_lo_u16 v64, 0x75, v64
	v_mul_lo_u16 v62, 0x75, v62
	;; [unrolled: 1-line block ×3, first 2 shown]
	v_mad_u16 v68, 0x75, v83, v80
	v_mad_u16 v74, 0x75, v84, v81
	v_sub_nc_u16 v94, v61, v64
	v_mad_u16 v64, 0x75, v82, v79
	v_sub_nc_u16 v92, v77, v62
	v_sub_nc_u16 v93, v60, v63
	v_and_b32_e32 v63, 0xffff, v75
	v_lshlrev_b16 v62, 4, v94
	v_and_b32_e32 v75, 0xffff, v64
	ds_load_2addr_b64 v[64:67], v104 offset0:18 offset1:135
	v_lshlrev_b16 v60, 4, v92
	v_lshlrev_b16 v61, 4, v93
	v_mul_u32_u24_e32 v72, 0x75, v63
	v_lshlrev_b32_e32 v77, 5, v77
	v_lshlrev_b32_e32 v76, 5, v76
	v_and_b32_e32 v96, 0xffff, v60
	v_and_b32_e32 v60, 0xffff, v78
	;; [unrolled: 1-line block ×3, first 2 shown]
	ds_load_2addr_b64 v[68:71], v106 offset0:62 offset1:179
	v_and_b32_e32 v79, 0xffff, v74
	v_and_b32_e32 v97, 0xffff, v61
	;; [unrolled: 1-line block ×3, first 2 shown]
	v_add_lshl_u32 v176, v72, v85, 3
	s_wait_loadcnt_dscnt 0x401
	v_mul_f32_e32 v101, v65, v59
	s_wait_loadcnt_dscnt 0x300
	v_mul_f32_e32 v103, v69, v53
	v_mul_u32_u24_e32 v73, 0x75, v60
	ds_load_2addr_b64 v[60:63], v105 offset0:84 offset1:201
	v_mul_f32_e32 v110, v67, v55
	v_dual_mul_f32 v109, v68, v53 :: v_dual_lshlrev_b32 v174, 3, v75
	v_add_lshl_u32 v175, v73, v86, 3
	ds_load_2addr_b64 v[72:75], v120 offset0:124 offset1:241
	s_wait_loadcnt 0x2
	v_dual_mul_f32 v112, v71, v49 :: v_dual_lshlrev_b32 v173, 3, v78
	v_lshlrev_b32_e32 v169, 3, v79
	ds_load_2addr_b64 v[78:81], v107 offset0:40 offset1:157
	ds_load_2addr_b64 v[82:85], v161 offset1:117
	ds_load_2addr_b64 v[86:89], v108 offset0:106 offset1:223
	ds_load_b64 v[90:91], v161 offset:13104
	v_mul_f32_e32 v102, v64, v59
	v_mul_f32_e32 v111, v66, v55
	;; [unrolled: 1-line block ×3, first 2 shown]
	v_fma_f32 v66, v66, v54, -v110
	global_wb scope:SCOPE_SE
	s_wait_loadcnt_dscnt 0x0
	v_fmac_f32_e32 v102, v65, v58
	v_fma_f32 v65, v70, v48, -v112
	s_barrier_signal -1
	s_barrier_wait -1
	global_inv scope:SCOPE_SE
	v_mul_f32_e32 v99, v63, v57
	v_mul_f32_e32 v100, v62, v57
	;; [unrolled: 1-line block ×4, first 2 shown]
	s_delay_alu instid0(VALU_DEP_3)
	v_dual_mul_f32 v115, v72, v51 :: v_dual_fmac_f32 v100, v63, v56
	v_mul_f32_e32 v116, v79, v45
	v_dual_mul_f32 v117, v78, v45 :: v_dual_mul_f32 v118, v75, v47
	v_mul_f32_e32 v119, v74, v47
	v_dual_mul_f32 v121, v81, v41 :: v_dual_mul_f32 v124, v90, v43
	v_dual_mul_f32 v123, v91, v43 :: v_dual_fmac_f32 v122, v81, v40
	v_fma_f32 v62, v62, v56, -v99
	v_fma_f32 v63, v64, v58, -v101
	;; [unrolled: 1-line block ×3, first 2 shown]
	v_dual_fmac_f32 v109, v69, v52 :: v_dual_fmac_f32 v124, v91, v42
	v_fmac_f32_e32 v111, v67, v54
	v_dual_fmac_f32 v113, v71, v48 :: v_dual_add_f32 v70, v82, v62
	v_fma_f32 v68, v72, v50, -v114
	v_fmac_f32_e32 v115, v73, v50
	v_fma_f32 v67, v78, v44, -v116
	v_add_f32_e32 v78, v84, v64
	v_fma_f32 v72, v74, v46, -v118
	s_delay_alu instid0(VALU_DEP_4)
	v_dual_fmac_f32 v119, v75, v46 :: v_dual_add_f32 v112, v113, v115
	v_fma_f32 v69, v80, v40, -v121
	v_fma_f32 v74, v90, v42, -v123
	v_add_f32_e32 v71, v62, v63
	v_dual_add_f32 v73, v83, v100 :: v_dual_add_f32 v114, v88, v67
	v_dual_add_f32 v75, v100, v102 :: v_dual_add_f32 v116, v67, v72
	v_dual_sub_f32 v80, v62, v63 :: v_dual_fmac_f32 v117, v79, v44
	v_dual_sub_f32 v90, v109, v111 :: v_dual_add_f32 v81, v64, v66
	v_dual_add_f32 v101, v86, v65 :: v_dual_add_f32 v126, v69, v74
	v_dual_add_f32 v103, v65, v68 :: v_dual_add_f32 v62, v70, v63
	v_add_f32_e32 v99, v109, v111
	v_dual_sub_f32 v79, v100, v102 :: v_dual_add_f32 v110, v87, v113
	v_dual_add_f32 v91, v85, v109 :: v_dual_sub_f32 v100, v64, v66
	v_sub_f32_e32 v109, v113, v115
	v_dual_sub_f32 v118, v117, v119 :: v_dual_sub_f32 v123, v67, v72
	v_dual_sub_f32 v160, v69, v74 :: v_dual_add_f32 v125, v60, v69
	v_fma_f32 v64, -0.5, v71, v82
	v_sub_f32_e32 v113, v65, v68
	v_add_f32_e32 v121, v89, v117
	v_fma_f32 v65, -0.5, v75, v83
	v_fma_f32 v84, -0.5, v81, v84
	v_add_f32_e32 v117, v117, v119
	v_add_f32_e32 v68, v101, v68
	v_dual_sub_f32 v127, v122, v124 :: v_dual_add_f32 v74, v125, v74
	v_fma_f32 v70, -0.5, v103, v86
	v_dual_add_f32 v72, v114, v72 :: v_dual_add_f32 v159, v61, v122
	v_add_f32_e32 v122, v122, v124
	v_dual_add_f32 v66, v78, v66 :: v_dual_fmac_f32 v85, -0.5, v99
	s_delay_alu instid0(VALU_DEP_4)
	v_fmamk_f32 v82, v109, 0x3f5db3d7, v70
	v_fma_f32 v71, -0.5, v112, v87
	v_fma_f32 v88, -0.5, v116, v88
	v_add_f32_e32 v63, v73, v102
	v_fma_f32 v60, -0.5, v126, v60
	v_dual_fmac_f32 v61, -0.5, v122 :: v_dual_fmamk_f32 v78, v79, 0x3f5db3d7, v64
	v_dual_fmac_f32 v64, 0xbf5db3d7, v79 :: v_dual_fmamk_f32 v79, v80, 0xbf5db3d7, v65
	v_dual_fmac_f32 v65, 0x3f5db3d7, v80 :: v_dual_fmamk_f32 v80, v90, 0x3f5db3d7, v84
	v_fmac_f32_e32 v89, -0.5, v117
	v_dual_add_f32 v67, v91, v111 :: v_dual_fmac_f32 v84, 0xbf5db3d7, v90
	v_fmamk_f32 v81, v100, 0xbf5db3d7, v85
	v_fmac_f32_e32 v85, 0x3f5db3d7, v100
	v_add_f32_e32 v69, v110, v115
	v_dual_add_f32 v73, v121, v119 :: v_dual_fmamk_f32 v90, v127, 0x3f5db3d7, v60
	v_dual_fmac_f32 v70, 0xbf5db3d7, v109 :: v_dual_add_f32 v75, v159, v124
	v_fmamk_f32 v83, v113, 0xbf5db3d7, v71
	v_dual_fmac_f32 v71, 0x3f5db3d7, v113 :: v_dual_fmamk_f32 v86, v118, 0x3f5db3d7, v88
	v_fmac_f32_e32 v88, 0xbf5db3d7, v118
	v_dual_fmac_f32 v60, 0xbf5db3d7, v127 :: v_dual_fmamk_f32 v87, v123, 0xbf5db3d7, v89
	v_fmac_f32_e32 v89, 0x3f5db3d7, v123
	v_fmamk_f32 v91, v160, 0xbf5db3d7, v61
	v_fmac_f32_e32 v61, 0x3f5db3d7, v160
	ds_store_2addr_b64 v176, v[62:63], v[78:79] offset1:39
	ds_store_b64 v176, v[64:65] offset:624
	ds_store_2addr_b64 v175, v[66:67], v[80:81] offset1:39
	ds_store_b64 v175, v[84:85] offset:624
	;; [unrolled: 2-line block ×5, first 2 shown]
	global_wb scope:SCOPE_SE
	s_wait_dscnt 0x0
	s_barrier_signal -1
	s_barrier_wait -1
	global_inv scope:SCOPE_SE
	global_load_b128 v[72:75], v95, s[0:1] offset:832
	v_add_co_u32 v60, s2, s0, v96
	s_wait_alu 0xf1ff
	v_add_co_ci_u32_e64 v61, null, s1, 0, s2
	v_add_co_u32 v62, s2, s0, v97
	s_wait_alu 0xf1ff
	v_add_co_ci_u32_e64 v63, null, s1, 0, s2
	global_load_b128 v[68:71], v[60:61], off offset:832
	v_add_co_u32 v60, s2, s0, v98
	s_wait_alu 0xf1ff
	v_add_co_ci_u32_e64 v61, null, s1, 0, s2
	s_clause 0x1
	global_load_b128 v[64:67], v[62:63], off offset:832
	global_load_b128 v[60:63], v[60:61], off offset:832
	ds_load_2addr_b64 v[78:81], v105 offset0:84 offset1:201
	v_and_b32_e32 v82, 0xffff, v92
	v_and_b32_e32 v86, 0xffff, v93
	;; [unrolled: 1-line block ×3, first 2 shown]
	s_delay_alu instid0(VALU_DEP_3)
	v_lshlrev_b32_e32 v170, 3, v82
	ds_load_2addr_b64 v[82:85], v104 offset0:18 offset1:135
	v_lshlrev_b32_e32 v172, 3, v86
	ds_load_2addr_b64 v[86:89], v106 offset0:62 offset1:179
	s_wait_loadcnt_dscnt 0x301
	v_dual_mul_f32 v119, v83, v75 :: v_dual_add_nc_u32 v114, 0x1400, v170
	v_mul_f32_e32 v117, v81, v73
	v_lshlrev_b32_e32 v171, 3, v90
	ds_load_2addr_b64 v[90:93], v120 offset0:124 offset1:241
	ds_load_2addr_b64 v[94:97], v107 offset0:40 offset1:157
	ds_load_2addr_b64 v[98:101], v161 offset1:117
	ds_load_2addr_b64 v[109:112], v108 offset0:106 offset1:223
	ds_load_b64 v[102:103], v161 offset:13104
	v_mul_f32_e32 v118, v80, v73
	s_wait_dscnt 0x5
	v_dual_mul_f32 v122, v87, v73 :: v_dual_lshlrev_b32 v113, 5, v162
	v_dual_mul_f32 v123, v86, v73 :: v_dual_mul_f32 v124, v85, v75
	s_delay_alu instid0(VALU_DEP_3)
	v_fmac_f32_e32 v118, v81, v72
	s_wait_loadcnt 0x2
	v_mul_f32_e32 v126, v89, v69
	v_fma_f32 v80, v80, v72, -v117
	v_mul_f32_e32 v125, v84, v75
	v_fma_f32 v81, v82, v74, -v119
	;; [unrolled: 2-line block ×3, first 2 shown]
	v_fmac_f32_e32 v123, v87, v72
	v_fma_f32 v84, v84, v74, -v124
	v_mul_f32_e32 v127, v88, v69
	global_wb scope:SCOPE_SE
	s_wait_loadcnt_dscnt 0x0
	v_mul_f32_e32 v178, v95, v65
	v_mul_f32_e32 v182, v97, v61
	v_add_nc_u32_e32 v116, 0x2800, v171
	v_mul_f32_e32 v159, v91, v71
	v_mul_f32_e32 v180, v93, v67
	v_dual_mul_f32 v160, v90, v71 :: v_dual_mul_f32 v183, v96, v61
	v_fma_f32 v87, v96, v60, -v182
	v_dual_sub_f32 v96, v80, v81 :: v_dual_fmac_f32 v121, v83, v74
	v_fma_f32 v83, v88, v68, -v126
	v_mul_f32_e32 v179, v94, v65
	v_dual_add_f32 v88, v98, v80 :: v_dual_fmac_f32 v125, v85, v74
	v_fma_f32 v85, v94, v64, -v178
	v_add_f32_e32 v94, v100, v82
	v_fma_f32 v86, v90, v70, -v159
	v_fma_f32 v90, v92, v66, -v180
	v_dual_mul_f32 v184, v103, v63 :: v_dual_add_nc_u32 v115, 0x2000, v172
	v_fmac_f32_e32 v160, v91, v70
	s_delay_alu instid0(VALU_DEP_4) | instskip(NEXT) | instid1(VALU_DEP_4)
	v_add_f32_e32 v122, v83, v86
	v_dual_fmac_f32 v179, v95, v64 :: v_dual_add_f32 v178, v85, v90
	v_mul_f32_e32 v181, v92, v67
	v_mul_f32_e32 v185, v102, v63
	v_fma_f32 v92, v102, v62, -v184
	v_add_f32_e32 v91, v99, v118
	s_delay_alu instid0(VALU_DEP_4) | instskip(SKIP_3) | instid1(VALU_DEP_2)
	v_dual_sub_f32 v102, v123, v125 :: v_dual_fmac_f32 v181, v93, v66
	v_add_f32_e32 v119, v109, v83
	v_dual_add_f32 v159, v111, v85 :: v_dual_sub_f32 v184, v85, v90
	v_dual_add_f32 v182, v112, v179 :: v_dual_sub_f32 v95, v118, v121
	v_dual_add_f32 v93, v118, v121 :: v_dual_add_f32 v90, v159, v90
	v_sub_f32_e32 v118, v82, v84
	v_dual_fmac_f32 v127, v89, v68 :: v_dual_add_f32 v186, v78, v87
	v_dual_add_f32 v89, v80, v81 :: v_dual_sub_f32 v190, v87, v92
	v_add_f32_e32 v80, v88, v81
	s_delay_alu instid0(VALU_DEP_3)
	v_dual_add_f32 v124, v110, v127 :: v_dual_fmac_f32 v183, v97, v60
	v_add_f32_e32 v126, v127, v160
	v_fmac_f32_e32 v185, v103, v62
	v_add_f32_e32 v97, v82, v84
	v_fma_f32 v82, -0.5, v89, v98
	v_dual_add_f32 v84, v94, v84 :: v_dual_add_f32 v103, v101, v123
	s_delay_alu instid0(VALU_DEP_4)
	v_sub_f32_e32 v188, v183, v185
	v_add_f32_e32 v189, v79, v183
	v_add_f32_e32 v183, v183, v185
	v_sub_f32_e32 v180, v179, v181
	v_add_f32_e32 v117, v123, v125
	v_sub_f32_e32 v123, v127, v160
	v_fma_f32 v88, -0.5, v122, v109
	v_sub_f32_e32 v127, v83, v86
	v_fma_f32 v83, -0.5, v93, v99
	v_add_f32_e32 v86, v119, v86
	v_fmamk_f32 v94, v95, 0x3f5db3d7, v82
	v_fma_f32 v100, -0.5, v97, v100
	v_add_f32_e32 v179, v179, v181
	v_fmac_f32_e32 v79, -0.5, v183
	v_dual_add_f32 v187, v87, v92 :: v_dual_fmac_f32 v82, 0xbf5db3d7, v95
	v_fmamk_f32 v95, v96, 0xbf5db3d7, v83
	v_dual_fmac_f32 v83, 0x3f5db3d7, v96 :: v_dual_fmamk_f32 v96, v102, 0x3f5db3d7, v100
	v_dual_fmac_f32 v100, 0xbf5db3d7, v102 :: v_dual_fmac_f32 v101, -0.5, v117
	v_fmamk_f32 v98, v123, 0x3f5db3d7, v88
	v_fma_f32 v89, -0.5, v126, v110
	v_fma_f32 v111, -0.5, v178, v111
	v_fmac_f32_e32 v112, -0.5, v179
	v_fmamk_f32 v110, v190, 0xbf5db3d7, v79
	v_fma_f32 v78, -0.5, v187, v78
	v_dual_add_f32 v81, v91, v121 :: v_dual_add_f32 v92, v186, v92
	v_add_f32_e32 v85, v103, v125
	v_fmamk_f32 v97, v118, 0xbf5db3d7, v101
	v_fmac_f32_e32 v101, 0x3f5db3d7, v118
	v_dual_add_f32 v87, v124, v160 :: v_dual_fmac_f32 v88, 0xbf5db3d7, v123
	v_fmamk_f32 v99, v127, 0xbf5db3d7, v89
	v_dual_add_f32 v91, v182, v181 :: v_dual_fmamk_f32 v102, v180, 0x3f5db3d7, v111
	v_fmamk_f32 v103, v184, 0xbf5db3d7, v112
	v_fmamk_f32 v109, v188, 0x3f5db3d7, v78
	v_dual_fmac_f32 v78, 0xbf5db3d7, v188 :: v_dual_add_f32 v93, v189, v185
	s_barrier_signal -1
	s_barrier_wait -1
	global_inv scope:SCOPE_SE
	v_fmac_f32_e32 v89, 0x3f5db3d7, v127
	v_fmac_f32_e32 v111, 0xbf5db3d7, v180
	v_dual_fmac_f32 v112, 0x3f5db3d7, v184 :: v_dual_fmac_f32 v79, 0x3f5db3d7, v190
	ds_store_2addr_b64 v161, v[80:81], v[94:95] offset1:117
	ds_store_2addr_b64 v108, v[82:83], v[84:85] offset0:106 offset1:223
	ds_store_2addr_b64 v105, v[96:97], v[100:101] offset0:84 offset1:201
	;; [unrolled: 1-line block ×5, first 2 shown]
	ds_store_b64 v170, v[88:89] offset:7488
	ds_store_b64 v172, v[111:112] offset:10296
	;; [unrolled: 1-line block ×3, first 2 shown]
	global_wb scope:SCOPE_SE
	s_wait_dscnt 0x0
	s_barrier_signal -1
	s_barrier_wait -1
	global_inv scope:SCOPE_SE
	s_clause 0x5
	global_load_b128 v[92:95], v113, s[0:1] offset:2704
	global_load_b128 v[96:99], v113, s[0:1] offset:2720
	global_load_b128 v[80:83], v76, s[0:1] offset:2704
	global_load_b128 v[88:91], v76, s[0:1] offset:2720
	global_load_b128 v[84:87], v77, s[0:1] offset:2704
	global_load_b128 v[76:79], v77, s[0:1] offset:2720
	ds_load_2addr_b64 v[100:103], v108 offset0:106 offset1:223
	ds_load_2addr_b64 v[109:112], v106 offset0:62 offset1:179
	;; [unrolled: 1-line block ×6, first 2 shown]
	ds_load_2addr_b64 v[186:189], v161 offset1:117
	ds_load_b64 v[117:118], v161 offset:13104
	s_add_nc_u64 s[0:1], s[12:13], 0x36d8
	s_wait_loadcnt_dscnt 0x202
	v_mul_f32_e32 v196, v183, v89
	v_dual_mul_f32 v160, v115, v97 :: v_dual_mul_f32 v191, v121, v99
	v_mul_f32_e32 v127, v109, v95
	v_mul_f32_e32 v190, v122, v99
	;; [unrolled: 1-line block ×3, first 2 shown]
	s_delay_alu instid0(VALU_DEP_4) | instskip(SKIP_3) | instid1(VALU_DEP_3)
	v_dual_fmac_f32 v160, v116, v96 :: v_dual_fmac_f32 v191, v122, v98
	v_mul_f32_e32 v125, v102, v93
	v_dual_fmac_f32 v127, v110, v94 :: v_dual_mul_f32 v192, v179, v81
	v_dual_mul_f32 v193, v178, v81 :: v_dual_mul_f32 v198, v124, v91
	v_fmac_f32_e32 v125, v103, v92
	v_dual_mul_f32 v119, v103, v93 :: v_dual_mul_f32 v194, v112, v83
	s_wait_loadcnt 0x1
	v_mul_f32_e32 v200, v181, v85
	v_mul_f32_e32 v202, v114, v87
	s_wait_loadcnt 0x0
	v_mul_f32_e32 v204, v185, v77
	v_fma_f32 v102, v102, v92, -v119
	v_fma_f32 v119, v121, v98, -v190
	;; [unrolled: 1-line block ×3, first 2 shown]
	v_mul_f32_e32 v199, v123, v91
	v_fma_f32 v103, v109, v94, -v126
	v_fma_f32 v109, v178, v80, -v192
	v_sub_f32_e32 v190, v160, v191
	v_mul_f32_e32 v159, v116, v97
	v_fmac_f32_e32 v199, v124, v90
	v_fmac_f32_e32 v193, v179, v80
	v_mul_f32_e32 v197, v182, v89
	v_fma_f32 v182, v123, v90, -v198
	v_mul_f32_e32 v201, v180, v85
	s_wait_dscnt 0x0
	v_dual_mul_f32 v205, v184, v77 :: v_dual_mul_f32 v206, v118, v79
	v_fma_f32 v116, v111, v82, -v194
	v_dual_sub_f32 v208, v121, v182 :: v_dual_mul_f32 v195, v111, v83
	v_fma_f32 v110, v180, v84, -v200
	v_fma_f32 v122, v113, v86, -v202
	s_delay_alu instid0(VALU_DEP_4)
	v_sub_f32_e32 v200, v109, v116
	v_fma_f32 v126, v184, v76, -v204
	v_add_f32_e32 v204, v109, v182
	v_fmac_f32_e32 v201, v181, v84
	v_mul_f32_e32 v207, v117, v79
	v_dual_fmac_f32 v205, v185, v76 :: v_dual_sub_f32 v224, v122, v110
	v_fmac_f32_e32 v195, v112, v82
	v_add_f32_e32 v218, v122, v126
	v_add_f32_e32 v226, v101, v201
	v_dual_sub_f32 v196, v193, v199 :: v_dual_fmac_f32 v197, v183, v88
	v_mul_f32_e32 v203, v113, v87
	v_fma_f32 v183, v117, v78, -v206
	v_sub_f32_e32 v180, v102, v119
	v_fma_f32 v115, v115, v96, -v159
	v_sub_f32_e32 v198, v195, v197
	v_sub_f32_e32 v206, v116, v109
	;; [unrolled: 1-line block ×3, first 2 shown]
	v_fmac_f32_e32 v207, v118, v78
	v_fmac_f32_e32 v203, v114, v86
	v_sub_f32_e32 v118, v103, v102
	v_sub_f32_e32 v212, v116, v121
	v_add_f32_e32 v124, v187, v125
	v_add_f32_e32 v232, v201, v207
	v_sub_f32_e32 v220, v203, v205
	v_dual_add_f32 v210, v195, v197 :: v_dual_add_f32 v111, v186, v102
	v_dual_add_f32 v159, v127, v160 :: v_dual_sub_f32 v228, v110, v183
	v_sub_f32_e32 v221, v110, v122
	v_sub_f32_e32 v123, v115, v119
	v_add_f32_e32 v112, v103, v115
	v_sub_f32_e32 v113, v102, v103
	v_sub_f32_e32 v114, v119, v115
	v_add_f32_e32 v192, v188, v109
	v_add_f32_e32 v194, v116, v121
	v_sub_f32_e32 v202, v182, v121
	v_dual_sub_f32 v214, v199, v197 :: v_dual_sub_f32 v179, v125, v191
	v_sub_f32_e32 v184, v191, v160
	v_sub_f32_e32 v216, v197, v199
	v_add_f32_e32 v209, v189, v193
	v_add_f32_e32 v215, v193, v199
	v_dual_add_f32 v217, v100, v110 :: v_dual_sub_f32 v230, v201, v203
	v_sub_f32_e32 v231, v207, v205
	v_sub_f32_e32 v211, v109, v182
	v_add_f32_e32 v223, v110, v183
	v_add_f32_e32 v236, v118, v123
	;; [unrolled: 1-line block ×4, first 2 shown]
	v_fma_f32 v110, -0.5, v159, v187
	v_sub_f32_e32 v181, v103, v115
	v_add_f32_e32 v185, v125, v191
	v_sub_f32_e32 v213, v193, v195
	v_dual_sub_f32 v193, v195, v193 :: v_dual_add_f32 v124, v209, v195
	v_add_f32_e32 v117, v102, v119
	v_dual_sub_f32 v102, v125, v127 :: v_dual_sub_f32 v125, v127, v125
	v_sub_f32_e32 v178, v127, v160
	v_fma_f32 v109, -0.5, v112, v186
	v_add_f32_e32 v123, v192, v116
	s_delay_alu instid0(VALU_DEP_4)
	v_dual_add_f32 v127, v102, v184 :: v_dual_add_f32 v184, v125, v190
	v_fmamk_f32 v116, v180, 0xbf737871, v110
	v_fmac_f32_e32 v110, 0x3f737871, v180
	v_fma_f32 v112, -0.5, v185, v187
	v_dual_add_f32 v185, v200, v202 :: v_dual_add_f32 v200, v234, v115
	v_add_f32_e32 v235, v113, v114
	v_fma_f32 v113, -0.5, v194, v188
	v_fma_f32 v188, -0.5, v204, v188
	;; [unrolled: 1-line block ×3, first 2 shown]
	v_sub_f32_e32 v219, v201, v207
	v_fma_f32 v102, -0.5, v218, v100
	v_dual_add_f32 v194, v230, v231 :: v_dual_add_f32 v227, v203, v205
	v_fmac_f32_e32 v116, 0xbf167918, v181
	v_dual_add_f32 v202, v123, v121 :: v_dual_fmamk_f32 v123, v198, 0xbf737871, v188
	v_fmac_f32_e32 v188, 0x3f737871, v198
	v_sub_f32_e32 v229, v122, v126
	v_dual_add_f32 v125, v217, v122 :: v_dual_fmamk_f32 v122, v211, 0xbf737871, v114
	v_fma_f32 v100, -0.5, v223, v100
	s_delay_alu instid0(VALU_DEP_4) | instskip(SKIP_1) | instid1(VALU_DEP_4)
	v_dual_fmac_f32 v188, 0xbf167918, v196 :: v_dual_add_f32 v159, v226, v203
	v_fmac_f32_e32 v114, 0x3f737871, v211
	v_dual_fmac_f32 v122, 0xbf167918, v212 :: v_dual_sub_f32 v233, v205, v207
	v_fma_f32 v103, -0.5, v227, v101
	s_delay_alu instid0(VALU_DEP_4)
	v_add_f32_e32 v204, v159, v205
	v_sub_f32_e32 v201, v203, v201
	v_fmac_f32_e32 v189, -0.5, v215
	v_sub_f32_e32 v225, v126, v183
	v_add_f32_e32 v203, v125, v126
	v_fmamk_f32 v159, v220, 0xbf737871, v100
	v_fmac_f32_e32 v100, 0x3f737871, v220
	v_dual_fmamk_f32 v126, v228, 0xbf737871, v103 :: v_dual_add_f32 v195, v201, v233
	v_fmac_f32_e32 v114, 0x3f167918, v212
	s_delay_alu instid0(VALU_DEP_3)
	v_dual_add_f32 v201, v118, v160 :: v_dual_fmac_f32 v100, 0xbf167918, v219
	v_fmamk_f32 v118, v181, 0x3f737871, v112
	v_fmac_f32_e32 v112, 0xbf737871, v181
	v_add_f32_e32 v190, v193, v216
	v_fma_f32 v111, -0.5, v117, v186
	v_fmamk_f32 v125, v219, 0x3f737871, v102
	v_dual_fmac_f32 v102, 0xbf737871, v219 :: v_dual_add_f32 v197, v124, v197
	v_fmac_f32_e32 v112, 0x3f167918, v180
	v_fmamk_f32 v124, v212, 0x3f737871, v189
	v_fmac_f32_e32 v101, -0.5, v232
	v_dual_add_f32 v186, v206, v208 :: v_dual_fmamk_f32 v115, v179, 0x3f737871, v109
	v_fmac_f32_e32 v126, 0xbf167918, v229
	v_fmamk_f32 v117, v178, 0xbf737871, v111
	v_fmac_f32_e32 v109, 0xbf737871, v179
	v_fmac_f32_e32 v111, 0x3f737871, v178
	v_fmamk_f32 v121, v196, 0x3f737871, v113
	v_fmac_f32_e32 v113, 0xbf737871, v196
	v_fmac_f32_e32 v189, 0xbf737871, v212
	;; [unrolled: 1-line block ×3, first 2 shown]
	v_fmamk_f32 v160, v229, 0x3f737871, v101
	v_fmac_f32_e32 v103, 0x3f737871, v228
	v_fmac_f32_e32 v101, 0xbf737871, v229
	v_dual_add_f32 v187, v213, v214 :: v_dual_fmac_f32 v118, 0xbf167918, v180
	v_dual_add_f32 v193, v224, v225 :: v_dual_add_f32 v180, v202, v182
	v_fmac_f32_e32 v115, 0x3f167918, v178
	v_dual_fmac_f32 v123, 0x3f167918, v196 :: v_dual_add_f32 v182, v203, v183
	v_fmac_f32_e32 v117, 0x3f167918, v179
	v_dual_fmac_f32 v109, 0xbf167918, v178 :: v_dual_fmac_f32 v160, 0xbf167918, v228
	v_fmac_f32_e32 v111, 0xbf167918, v179
	v_fmac_f32_e32 v110, 0x3f167918, v181
	;; [unrolled: 1-line block ×3, first 2 shown]
	v_add_f32_e32 v192, v221, v222
	v_fmac_f32_e32 v121, 0x3f167918, v198
	v_fmac_f32_e32 v189, 0x3f167918, v211
	v_fmac_f32_e32 v125, 0x3f167918, v220
	v_fmac_f32_e32 v159, 0x3f167918, v219
	v_add_f32_e32 v178, v200, v119
	v_dual_add_f32 v179, v201, v191 :: v_dual_fmac_f32 v118, 0x3e9e377a, v184
	v_dual_fmac_f32 v102, 0xbf167918, v220 :: v_dual_add_f32 v181, v197, v199
	v_fmac_f32_e32 v112, 0x3e9e377a, v184
	v_fmac_f32_e32 v103, 0x3f167918, v229
	;; [unrolled: 1-line block ×3, first 2 shown]
	v_dual_fmac_f32 v115, 0x3e9e377a, v235 :: v_dual_fmac_f32 v124, 0x3e9e377a, v190
	v_dual_fmac_f32 v117, 0x3e9e377a, v236 :: v_dual_fmac_f32 v116, 0x3e9e377a, v127
	;; [unrolled: 1-line block ×6, first 2 shown]
	v_dual_add_f32 v183, v204, v207 :: v_dual_fmac_f32 v188, 0x3e9e377a, v186
	v_dual_fmac_f32 v121, 0x3e9e377a, v185 :: v_dual_fmac_f32 v122, 0x3e9e377a, v187
	v_dual_fmac_f32 v189, 0x3e9e377a, v190 :: v_dual_fmac_f32 v160, 0x3e9e377a, v195
	;; [unrolled: 1-line block ×3, first 2 shown]
	v_fmac_f32_e32 v159, 0x3e9e377a, v193
	v_fmac_f32_e32 v103, 0x3e9e377a, v194
	;; [unrolled: 1-line block ×3, first 2 shown]
	ds_store_2addr_b64 v161, v[178:179], v[180:181] offset1:117
	ds_store_2addr_b64 v106, v[117:118], v[123:124] offset0:62 offset1:179
	ds_store_2addr_b64 v120, v[109:110], v[113:114] offset0:124 offset1:241
	;; [unrolled: 1-line block ×6, first 2 shown]
	ds_store_b64 v161, v[102:103] offset:13104
	global_wb scope:SCOPE_SE
	s_wait_dscnt 0x0
	s_barrier_signal -1
	s_barrier_wait -1
	global_inv scope:SCOPE_SE
	s_clause 0xc
	global_load_b64 v[112:113], v[128:129], off offset:14040
	global_load_b64 v[114:115], v161, s[0:1] offset:1080
	global_load_b64 v[118:119], v161, s[0:1] offset:2160
	;; [unrolled: 1-line block ×12, first 2 shown]
	ds_load_2addr_b64 v[108:111], v161 offset1:135
	s_wait_loadcnt_dscnt 0xc00
	v_mul_f32_e32 v117, v109, v113
	s_wait_loadcnt 0xb
	v_dual_mul_f32 v116, v108, v113 :: v_dual_mul_f32 v121, v111, v115
	v_mul_f32_e32 v113, v110, v115
	s_delay_alu instid0(VALU_DEP_3) | instskip(NEXT) | instid1(VALU_DEP_3)
	v_fma_f32 v115, v108, v112, -v117
	v_fmac_f32_e32 v116, v109, v112
	v_add_nc_u32_e32 v108, 0x1000, v161
	v_fma_f32 v112, v110, v114, -v121
	v_fmac_f32_e32 v113, v111, v114
	v_add_nc_u32_e32 v109, 0x800, v161
	ds_store_2addr_b64 v161, v[115:116], v[112:113] offset1:135
	v_add_nc_u32_e32 v112, 0x1800, v161
	ds_load_2addr_b64 v[114:117], v109 offset0:14 offset1:149
	ds_load_2addr_b64 v[121:124], v108 offset0:28 offset1:163
	v_add_nc_u32_e32 v113, 0x2000, v161
	ds_load_2addr_b64 v[178:181], v112 offset0:42 offset1:177
	ds_load_2addr_b64 v[182:185], v113 offset0:56 offset1:191
	;; [unrolled: 1-line block ×3, first 2 shown]
	ds_load_b64 v[110:111], v161 offset:12960
	s_wait_loadcnt_dscnt 0xa05
	v_mul_f32_e32 v207, v115, v119
	s_wait_loadcnt 0x9
	v_dual_mul_f32 v127, v114, v119 :: v_dual_mul_f32 v208, v117, v126
	v_mul_f32_e32 v119, v116, v126
	s_wait_loadcnt_dscnt 0x804
	v_mul_f32_e32 v209, v122, v160
	v_mul_f32_e32 v206, v121, v160
	s_wait_loadcnt 0x7
	v_mul_f32_e32 v210, v124, v191
	v_mul_f32_e32 v160, v123, v191
	s_wait_loadcnt_dscnt 0x603
	v_mul_f32_e32 v211, v179, v193
	s_wait_loadcnt 0x5
	v_dual_mul_f32 v191, v178, v193 :: v_dual_mul_f32 v212, v181, v195
	v_mul_f32_e32 v193, v180, v195
	s_wait_loadcnt_dscnt 0x402
	v_mul_f32_e32 v213, v183, v197
	s_wait_loadcnt 0x3
	v_dual_mul_f32 v195, v182, v197 :: v_dual_mul_f32 v214, v185, v199
	;; [unrolled: 5-line block ×3, first 2 shown]
	v_mul_f32_e32 v201, v188, v203
	s_wait_loadcnt_dscnt 0x0
	v_mul_f32_e32 v217, v111, v205
	v_mul_f32_e32 v203, v110, v205
	v_fma_f32 v126, v114, v118, -v207
	v_fmac_f32_e32 v127, v115, v118
	v_fma_f32 v118, v116, v125, -v208
	v_fmac_f32_e32 v119, v117, v125
	;; [unrolled: 2-line block ×11, first 2 shown]
	ds_store_2addr_b64 v109, v[126:127], v[118:119] offset0:14 offset1:149
	ds_store_2addr_b64 v108, v[205:206], v[159:160] offset0:28 offset1:163
	;; [unrolled: 1-line block ×5, first 2 shown]
	ds_store_b64 v161, v[202:203] offset:12960
	s_and_saveexec_b32 s2, vcc_lo
	s_cbranch_execz .LBB0_9
; %bb.8:
	s_wait_alu 0xfffe
	v_add_co_u32 v110, s0, s0, v161
	s_wait_alu 0xf1ff
	v_add_co_ci_u32_e64 v111, null, s1, 0, s0
	s_clause 0xc
	global_load_b64 v[118:119], v[110:111], off offset:936
	global_load_b64 v[121:122], v[110:111], off offset:2016
	;; [unrolled: 1-line block ×13, first 2 shown]
	ds_load_2addr_b64 v[114:117], v161 offset0:117 offset1:252
	s_wait_loadcnt_dscnt 0xb00
	v_dual_mul_f32 v124, v115, v119 :: v_dual_mul_f32 v127, v117, v122
	v_mul_f32_e32 v123, v114, v119
	v_mul_f32_e32 v119, v116, v122
	s_delay_alu instid0(VALU_DEP_3) | instskip(NEXT) | instid1(VALU_DEP_3)
	v_fma_f32 v122, v114, v118, -v124
	v_fmac_f32_e32 v123, v115, v118
	v_fma_f32 v118, v116, v121, -v127
	s_delay_alu instid0(VALU_DEP_4)
	v_fmac_f32_e32 v119, v117, v121
	ds_store_2addr_b64 v161, v[122:123], v[118:119] offset0:117 offset1:252
	ds_load_2addr_b64 v[114:117], v105 offset0:3 offset1:138
	ds_load_2addr_b64 v[121:124], v106 offset0:17 offset1:152
	;; [unrolled: 1-line block ×3, first 2 shown]
	s_wait_loadcnt_dscnt 0x902
	v_dual_mul_f32 v206, v116, v160 :: v_dual_add_nc_u32 v209, 0x2c00, v161
	s_wait_loadcnt_dscnt 0x701
	v_dual_mul_f32 v207, v115, v126 :: v_dual_mul_f32 v212, v124, v193
	s_wait_loadcnt_dscnt 0x500
	v_dual_mul_f32 v127, v114, v126 :: v_dual_mul_f32 v214, v181, v197
	v_fmac_f32_e32 v206, v117, v159
	ds_load_2addr_b64 v[182:185], v104 offset0:45 offset1:180
	ds_load_2addr_b64 v[186:189], v209 offset0:59 offset1:194
	ds_load_b64 v[118:119], v161 offset:13896
	v_dual_mul_f32 v210, v117, v160 :: v_dual_mul_f32 v211, v122, v191
	v_dual_mul_f32 v160, v121, v191 :: v_dual_mul_f32 v191, v123, v193
	v_mul_f32_e32 v213, v179, v195
	v_fma_f32 v126, v114, v125, -v207
	s_delay_alu instid0(VALU_DEP_3) | instskip(NEXT) | instid1(VALU_DEP_4)
	v_dual_fmac_f32 v127, v115, v125 :: v_dual_fmac_f32 v160, v122, v190
	v_fmac_f32_e32 v191, v124, v192
	s_wait_loadcnt_dscnt 0x101
	v_dual_mul_f32 v215, v183, v199 :: v_dual_mul_f32 v218, v189, v205
	s_wait_loadcnt_dscnt 0x0
	v_mul_f32_e32 v208, v118, v111
	v_mul_f32_e32 v193, v178, v195
	;; [unrolled: 1-line block ×3, first 2 shown]
	v_dual_mul_f32 v197, v182, v199 :: v_dual_mul_f32 v216, v185, v201
	s_delay_alu instid0(VALU_DEP_4)
	v_dual_fmac_f32 v208, v119, v110 :: v_dual_mul_f32 v199, v184, v201
	v_mul_f32_e32 v217, v187, v203
	v_mul_f32_e32 v201, v186, v203
	;; [unrolled: 1-line block ×4, first 2 shown]
	v_fma_f32 v205, v116, v159, -v210
	v_fma_f32 v159, v121, v190, -v211
	;; [unrolled: 1-line block ×4, first 2 shown]
	v_fmac_f32_e32 v193, v179, v194
	v_fma_f32 v194, v180, v196, -v214
	v_fmac_f32_e32 v195, v181, v196
	v_fma_f32 v196, v182, v198, -v215
	;; [unrolled: 2-line block ×6, first 2 shown]
	ds_store_2addr_b64 v105, v[126:127], v[205:206] offset0:3 offset1:138
	ds_store_2addr_b64 v106, v[159:160], v[190:191] offset0:17 offset1:152
	;; [unrolled: 1-line block ×5, first 2 shown]
	ds_store_b64 v161, v[207:208] offset:13896
.LBB0_9:
	s_wait_alu 0xfffe
	s_or_b32 exec_lo, exec_lo, s2
	global_wb scope:SCOPE_SE
	s_wait_dscnt 0x0
	s_barrier_signal -1
	s_barrier_wait -1
	global_inv scope:SCOPE_SE
	ds_load_2addr_b64 v[124:127], v161 offset1:135
	ds_load_2addr_b64 v[116:119], v109 offset0:14 offset1:149
	ds_load_2addr_b64 v[108:111], v108 offset0:28 offset1:163
	ds_load_2addr_b64 v[104:107], v112 offset0:42 offset1:177
	ds_load_2addr_b64 v[112:115], v113 offset0:56 offset1:191
	ds_load_2addr_b64 v[120:123], v120 offset0:70 offset1:205
	ds_load_b64 v[159:160], v161 offset:12960
	s_and_saveexec_b32 s0, vcc_lo
	s_cbranch_execz .LBB0_11
; %bb.10:
	v_add_nc_u32_e32 v20, 0xc00, v161
	v_add_nc_u32_e32 v21, 0x1400, v161
	;; [unrolled: 1-line block ×5, first 2 shown]
	ds_load_2addr_b64 v[100:103], v161 offset0:117 offset1:252
	ds_load_2addr_b64 v[24:27], v20 offset0:3 offset1:138
	;; [unrolled: 1-line block ×6, first 2 shown]
	ds_load_b64 v[157:158], v161 offset:13896
.LBB0_11:
	s_wait_alu 0xfffe
	s_or_b32 exec_lo, exec_lo, s0
	s_wait_dscnt 0x6
	v_dual_add_f32 v178, v124, v126 :: v_dual_add_f32 v179, v125, v127
	s_wait_dscnt 0x0
	v_dual_sub_f32 v181, v127, v160 :: v_dual_add_f32 v182, v160, v127
	v_dual_add_f32 v180, v159, v126 :: v_dual_sub_f32 v183, v126, v159
	s_delay_alu instid0(VALU_DEP_3) | instskip(NEXT) | instid1(VALU_DEP_3)
	v_dual_add_f32 v178, v178, v116 :: v_dual_add_f32 v179, v179, v117
	v_mul_f32_e32 v126, 0xbeedf032, v181
	global_wb scope:SCOPE_SE
	s_barrier_signal -1
	v_dual_add_f32 v127, v178, v118 :: v_dual_add_f32 v178, v179, v119
	v_mul_f32_e32 v179, 0x3f62ad3f, v182
	v_mul_f32_e32 v185, 0x3f116cb1, v182
	s_delay_alu instid0(VALU_DEP_3) | instskip(NEXT) | instid1(VALU_DEP_4)
	v_dual_mul_f32 v184, 0xbf52af12, v181 :: v_dual_add_f32 v127, v127, v108
	v_dual_add_f32 v178, v178, v109 :: v_dual_mul_f32 v187, 0x3df6dbef, v182
	v_mul_f32_e32 v186, 0xbf7e222b, v181
	s_barrier_wait -1
	s_delay_alu instid0(VALU_DEP_2) | instskip(SKIP_3) | instid1(VALU_DEP_4)
	v_dual_add_f32 v127, v127, v110 :: v_dual_add_f32 v178, v178, v111
	v_fmamk_f32 v189, v180, 0x3f62ad3f, v126
	v_mul_f32_e32 v188, 0xbf6f5d39, v181
	v_fma_f32 v126, 0x3f62ad3f, v180, -v126
	v_dual_add_f32 v127, v127, v104 :: v_dual_add_f32 v178, v178, v105
	v_fmamk_f32 v191, v180, 0x3f116cb1, v184
	v_dual_fmamk_f32 v190, v183, 0x3eedf032, v179 :: v_dual_add_f32 v189, v124, v189
	v_fma_f32 v184, 0x3f116cb1, v180, -v184
	s_delay_alu instid0(VALU_DEP_4) | instskip(SKIP_3) | instid1(VALU_DEP_4)
	v_add_f32_e32 v178, v178, v107
	v_fmac_f32_e32 v179, 0xbeedf032, v183
	v_dual_fmamk_f32 v192, v183, 0x3f52af12, v185 :: v_dual_add_f32 v195, v124, v126
	v_dual_fmac_f32 v185, 0xbf52af12, v183 :: v_dual_add_f32 v190, v125, v190
	v_dual_add_f32 v178, v178, v113 :: v_dual_add_f32 v127, v127, v106
	global_inv scope:SCOPE_SE
	v_add_f32_e32 v184, v124, v184
	v_mul_f32_e32 v196, 0xbf29c268, v181
	v_dual_add_f32 v178, v178, v115 :: v_dual_add_f32 v127, v127, v112
	v_dual_fmamk_f32 v194, v183, 0x3f7e222b, v187 :: v_dual_sub_f32 v201, v117, v123
	s_delay_alu instid0(VALU_DEP_3) | instskip(SKIP_1) | instid1(VALU_DEP_4)
	v_fmamk_f32 v198, v180, 0xbf3f9e67, v196
	v_fma_f32 v196, 0xbf3f9e67, v180, -v196
	v_add_f32_e32 v127, v127, v114
	v_fmamk_f32 v193, v180, 0x3df6dbef, v186
	v_fma_f32 v186, 0x3df6dbef, v180, -v186
	s_delay_alu instid0(VALU_DEP_4) | instskip(NEXT) | instid1(VALU_DEP_4)
	v_dual_mul_f32 v181, 0xbe750f2a, v181 :: v_dual_add_f32 v196, v124, v196
	v_dual_add_f32 v126, v127, v120 :: v_dual_add_f32 v127, v178, v121
	v_fmac_f32_e32 v187, 0xbf7e222b, v183
	v_add_f32_e32 v178, v125, v179
	s_delay_alu instid0(VALU_DEP_3) | instskip(NEXT) | instid1(VALU_DEP_4)
	v_dual_add_f32 v179, v124, v191 :: v_dual_add_f32 v126, v126, v122
	v_dual_add_f32 v127, v127, v123 :: v_dual_add_f32 v186, v124, v186
	;; [unrolled: 1-line block ×3, first 2 shown]
	s_delay_alu instid0(VALU_DEP_3) | instskip(NEXT) | instid1(VALU_DEP_3)
	v_dual_add_f32 v185, v125, v185 :: v_dual_add_f32 v126, v126, v159
	v_dual_add_f32 v127, v127, v160 :: v_dual_mul_f32 v160, 0xbeb58ec6, v182
	v_add_f32_e32 v193, v125, v194
	v_dual_add_f32 v187, v125, v187 :: v_dual_add_f32 v198, v124, v198
	s_delay_alu instid0(VALU_DEP_3)
	v_dual_add_f32 v203, v122, v116 :: v_dual_fmamk_f32 v194, v183, 0x3f6f5d39, v160
	v_fmamk_f32 v159, v180, 0xbeb58ec6, v188
	v_fma_f32 v188, 0xbeb58ec6, v180, -v188
	v_mul_f32_e32 v197, 0xbf3f9e67, v182
	v_mul_f32_e32 v182, 0xbf788fa5, v182
	v_dual_fmamk_f32 v200, v180, 0xbf788fa5, v181 :: v_dual_add_f32 v117, v123, v117
	s_delay_alu instid0(VALU_DEP_3) | instskip(NEXT) | instid1(VALU_DEP_3)
	v_dual_add_f32 v188, v124, v188 :: v_dual_fmamk_f32 v199, v183, 0x3f29c268, v197
	v_fmamk_f32 v202, v183, 0x3e750f2a, v182
	v_mul_f32_e32 v204, 0xbf52af12, v201
	s_delay_alu instid0(VALU_DEP_4) | instskip(NEXT) | instid1(VALU_DEP_4)
	v_dual_fmac_f32 v197, 0xbf29c268, v183 :: v_dual_add_f32 v200, v124, v200
	v_add_f32_e32 v199, v125, v199
	v_fmac_f32_e32 v160, 0xbf6f5d39, v183
	v_fma_f32 v123, 0xbf788fa5, v180, -v181
	s_delay_alu instid0(VALU_DEP_4) | instskip(SKIP_2) | instid1(VALU_DEP_4)
	v_dual_add_f32 v197, v125, v197 :: v_dual_fmac_f32 v182, 0xbe750f2a, v183
	v_sub_f32_e32 v116, v116, v122
	v_dual_mul_f32 v180, 0x3f116cb1, v117 :: v_dual_add_f32 v181, v125, v202
	v_dual_fmamk_f32 v122, v203, 0x3f116cb1, v204 :: v_dual_add_f32 v123, v124, v123
	v_dual_add_f32 v194, v125, v194 :: v_dual_add_f32 v159, v124, v159
	v_add_f32_e32 v160, v125, v160
	v_fma_f32 v183, 0x3f116cb1, v203, -v204
	s_delay_alu instid0(VALU_DEP_4) | instskip(SKIP_2) | instid1(VALU_DEP_4)
	v_add_f32_e32 v122, v122, v189
	v_dual_mul_f32 v189, 0xbeb58ec6, v117 :: v_dual_add_f32 v124, v125, v182
	v_fmamk_f32 v125, v116, 0x3f52af12, v180
	v_dual_mul_f32 v182, 0xbf6f5d39, v201 :: v_dual_add_f32 v183, v183, v195
	v_mul_f32_e32 v195, 0xbe750f2a, v201
	s_delay_alu instid0(VALU_DEP_3) | instskip(SKIP_1) | instid1(VALU_DEP_4)
	v_dual_mul_f32 v202, 0xbf3f9e67, v117 :: v_dual_add_f32 v125, v125, v190
	v_fmac_f32_e32 v180, 0xbf52af12, v116
	v_fmamk_f32 v190, v203, 0xbeb58ec6, v182
	s_delay_alu instid0(VALU_DEP_1) | instskip(SKIP_4) | instid1(VALU_DEP_4)
	v_dual_add_f32 v178, v180, v178 :: v_dual_add_f32 v179, v190, v179
	v_fma_f32 v182, 0xbeb58ec6, v203, -v182
	v_fmamk_f32 v190, v203, 0xbf788fa5, v195
	v_fmamk_f32 v180, v116, 0x3f6f5d39, v189
	v_fmac_f32_e32 v189, 0xbf6f5d39, v116
	v_add_f32_e32 v182, v182, v184
	s_delay_alu instid0(VALU_DEP_2) | instskip(SKIP_4) | instid1(VALU_DEP_4)
	v_add_f32_e32 v184, v189, v185
	v_mul_f32_e32 v185, 0x3f29c268, v201
	v_dual_add_f32 v189, v190, v192 :: v_dual_add_f32 v180, v180, v191
	v_mul_f32_e32 v191, 0xbf788fa5, v117
	v_fma_f32 v192, 0xbf788fa5, v203, -v195
	v_fmamk_f32 v195, v203, 0xbf3f9e67, v185
	v_fma_f32 v185, 0xbf3f9e67, v203, -v185
	s_delay_alu instid0(VALU_DEP_4) | instskip(SKIP_1) | instid1(VALU_DEP_4)
	v_fmamk_f32 v190, v116, 0x3e750f2a, v191
	v_fmac_f32_e32 v191, 0xbe750f2a, v116
	v_dual_add_f32 v159, v195, v159 :: v_dual_add_f32 v186, v192, v186
	s_delay_alu instid0(VALU_DEP_3) | instskip(NEXT) | instid1(VALU_DEP_3)
	v_dual_add_f32 v185, v185, v188 :: v_dual_add_f32 v190, v190, v193
	v_add_f32_e32 v187, v191, v187
	v_fmamk_f32 v191, v116, 0xbf29c268, v202
	v_mul_f32_e32 v192, 0x3f7e222b, v201
	v_mul_f32_e32 v193, 0x3df6dbef, v117
	;; [unrolled: 1-line block ×4, first 2 shown]
	v_add_f32_e32 v191, v191, v194
	v_fmamk_f32 v194, v203, 0x3df6dbef, v192
	v_fmamk_f32 v188, v116, 0xbf7e222b, v193
	v_fmac_f32_e32 v193, 0x3f7e222b, v116
	v_fmac_f32_e32 v202, 0x3f29c268, v116
	v_fma_f32 v192, 0x3df6dbef, v203, -v192
	v_add_f32_e32 v194, v194, v198
	s_delay_alu instid0(VALU_DEP_4) | instskip(NEXT) | instid1(VALU_DEP_4)
	v_dual_fmamk_f32 v198, v203, 0x3f62ad3f, v195 :: v_dual_add_f32 v193, v193, v197
	v_add_f32_e32 v160, v202, v160
	s_delay_alu instid0(VALU_DEP_4)
	v_add_f32_e32 v192, v192, v196
	v_dual_sub_f32 v196, v119, v121 :: v_dual_add_f32 v119, v121, v119
	v_add_f32_e32 v188, v188, v199
	v_add_f32_e32 v199, v120, v118
	;; [unrolled: 1-line block ×3, first 2 shown]
	v_fma_f32 v121, 0x3f62ad3f, v203, -v195
	v_fmamk_f32 v198, v116, 0xbeedf032, v117
	v_fmac_f32_e32 v117, 0x3eedf032, v116
	v_mul_f32_e32 v200, 0xbf7e222b, v196
	v_dual_sub_f32 v116, v118, v120 :: v_dual_mul_f32 v195, 0xbf788fa5, v119
	v_mul_f32_e32 v120, 0x3df6dbef, v119
	s_delay_alu instid0(VALU_DEP_3) | instskip(SKIP_3) | instid1(VALU_DEP_4)
	v_dual_add_f32 v121, v121, v123 :: v_dual_fmamk_f32 v118, v199, 0x3df6dbef, v200
	v_add_f32_e32 v117, v117, v124
	v_mul_f32_e32 v123, 0xbe750f2a, v196
	v_dual_add_f32 v181, v198, v181 :: v_dual_mul_f32 v198, 0x3f62ad3f, v119
	v_add_f32_e32 v118, v118, v122
	v_fmamk_f32 v122, v116, 0x3f7e222b, v120
	s_delay_alu instid0(VALU_DEP_1) | instskip(SKIP_1) | instid1(VALU_DEP_2)
	v_dual_add_f32 v122, v122, v125 :: v_dual_fmamk_f32 v125, v199, 0xbf788fa5, v123
	v_fma_f32 v123, 0xbf788fa5, v199, -v123
	v_add_f32_e32 v125, v125, v179
	v_fma_f32 v124, 0x3df6dbef, v199, -v200
	s_delay_alu instid0(VALU_DEP_3) | instskip(NEXT) | instid1(VALU_DEP_2)
	v_dual_add_f32 v123, v123, v182 :: v_dual_fmac_f32 v120, 0xbf7e222b, v116
	v_dual_add_f32 v124, v124, v183 :: v_dual_mul_f32 v183, 0x3f6f5d39, v196
	s_delay_alu instid0(VALU_DEP_1) | instskip(SKIP_3) | instid1(VALU_DEP_2)
	v_dual_add_f32 v120, v120, v178 :: v_dual_fmamk_f32 v179, v199, 0xbeb58ec6, v183
	v_fma_f32 v183, 0xbeb58ec6, v199, -v183
	v_fmamk_f32 v178, v116, 0x3e750f2a, v195
	v_fmac_f32_e32 v195, 0xbe750f2a, v116
	v_dual_add_f32 v183, v183, v186 :: v_dual_add_f32 v178, v178, v180
	v_dual_mul_f32 v180, 0xbeb58ec6, v119 :: v_dual_add_f32 v179, v179, v189
	s_delay_alu instid0(VALU_DEP_1) | instskip(NEXT) | instid1(VALU_DEP_1)
	v_fmamk_f32 v189, v116, 0xbf6f5d39, v180
	v_dual_fmac_f32 v180, 0x3f6f5d39, v116 :: v_dual_add_f32 v189, v189, v190
	s_delay_alu instid0(VALU_DEP_1) | instskip(SKIP_4) | instid1(VALU_DEP_2)
	v_dual_add_f32 v180, v180, v187 :: v_dual_mul_f32 v187, 0xbf52af12, v196
	v_mul_f32_e32 v190, 0x3f116cb1, v119
	v_add_f32_e32 v182, v195, v184
	v_mul_f32_e32 v184, 0x3eedf032, v196
	v_mul_f32_e32 v119, 0xbf3f9e67, v119
	v_fmamk_f32 v195, v199, 0x3f62ad3f, v184
	s_delay_alu instid0(VALU_DEP_1) | instskip(SKIP_1) | instid1(VALU_DEP_1)
	v_add_f32_e32 v159, v195, v159
	v_fma_f32 v184, 0x3f62ad3f, v199, -v184
	v_dual_mul_f32 v195, 0xbf29c268, v196 :: v_dual_add_f32 v184, v184, v185
	v_fmamk_f32 v185, v116, 0x3f52af12, v190
	v_fmamk_f32 v186, v116, 0xbeedf032, v198
	v_fmac_f32_e32 v198, 0x3eedf032, v116
	s_delay_alu instid0(VALU_DEP_2) | instskip(SKIP_2) | instid1(VALU_DEP_2)
	v_dual_add_f32 v185, v185, v188 :: v_dual_add_f32 v186, v186, v191
	v_fmamk_f32 v191, v199, 0x3f116cb1, v187
	v_fma_f32 v187, 0x3f116cb1, v199, -v187
	v_dual_fmac_f32 v190, 0xbf52af12, v116 :: v_dual_add_f32 v191, v191, v194
	s_delay_alu instid0(VALU_DEP_2) | instskip(NEXT) | instid1(VALU_DEP_2)
	v_dual_add_f32 v187, v187, v192 :: v_dual_sub_f32 v192, v109, v115
	v_dual_add_f32 v190, v190, v193 :: v_dual_fmamk_f32 v193, v116, 0x3f29c268, v119
	v_fmac_f32_e32 v119, 0xbf29c268, v116
	v_dual_add_f32 v109, v115, v109 :: v_dual_add_f32 v160, v198, v160
	s_delay_alu instid0(VALU_DEP_4) | instskip(SKIP_1) | instid1(VALU_DEP_4)
	v_mul_f32_e32 v196, 0xbf6f5d39, v192
	v_fma_f32 v115, 0xbf3f9e67, v199, -v195
	v_dual_add_f32 v117, v119, v117 :: v_dual_add_f32 v194, v114, v108
	s_delay_alu instid0(VALU_DEP_4) | instskip(SKIP_1) | instid1(VALU_DEP_4)
	v_mul_f32_e32 v116, 0xbeb58ec6, v109
	v_fmamk_f32 v188, v199, 0xbf3f9e67, v195
	v_add_f32_e32 v115, v115, v121
	v_add_f32_e32 v181, v193, v181
	v_mul_f32_e32 v193, 0xbf3f9e67, v109
	v_fma_f32 v121, 0xbeb58ec6, v194, -v196
	v_sub_f32_e32 v108, v108, v114
	v_fmamk_f32 v114, v194, 0xbeb58ec6, v196
	v_dual_add_f32 v188, v188, v197 :: v_dual_mul_f32 v119, 0x3f29c268, v192
	s_delay_alu instid0(VALU_DEP_4) | instskip(SKIP_1) | instid1(VALU_DEP_4)
	v_add_f32_e32 v121, v121, v124
	v_mul_f32_e32 v124, 0x3eedf032, v192
	v_add_f32_e32 v114, v114, v118
	v_fmamk_f32 v118, v108, 0x3f6f5d39, v116
	v_fmac_f32_e32 v116, 0xbf6f5d39, v108
	s_delay_alu instid0(VALU_DEP_1) | instskip(SKIP_1) | instid1(VALU_DEP_1)
	v_add_f32_e32 v116, v116, v120
	v_fmamk_f32 v120, v108, 0xbf29c268, v193
	v_dual_fmac_f32 v193, 0x3f29c268, v108 :: v_dual_add_f32 v120, v120, v178
	v_mul_f32_e32 v178, 0x3f62ad3f, v109
	v_add_f32_e32 v118, v118, v122
	v_fmamk_f32 v122, v194, 0xbf3f9e67, v119
	v_fma_f32 v119, 0xbf3f9e67, v194, -v119
	s_delay_alu instid0(VALU_DEP_1) | instskip(SKIP_1) | instid1(VALU_DEP_1)
	v_add_f32_e32 v119, v119, v123
	v_dual_add_f32 v123, v193, v182 :: v_dual_mul_f32 v182, 0xbf7e222b, v192
	v_fmamk_f32 v193, v194, 0x3df6dbef, v182
	v_fma_f32 v182, 0x3df6dbef, v194, -v182
	s_delay_alu instid0(VALU_DEP_2) | instskip(SKIP_2) | instid1(VALU_DEP_4)
	v_dual_add_f32 v159, v193, v159 :: v_dual_add_f32 v122, v122, v125
	v_fmamk_f32 v125, v194, 0x3f62ad3f, v124
	v_fma_f32 v124, 0x3f62ad3f, v194, -v124
	v_dual_mul_f32 v195, 0x3df6dbef, v109 :: v_dual_add_f32 v182, v182, v184
	s_delay_alu instid0(VALU_DEP_3) | instskip(SKIP_1) | instid1(VALU_DEP_4)
	v_add_f32_e32 v125, v125, v179
	v_fmamk_f32 v179, v108, 0xbeedf032, v178
	v_dual_add_f32 v124, v124, v183 :: v_dual_mul_f32 v183, 0x3e750f2a, v192
	s_delay_alu instid0(VALU_DEP_2) | instskip(SKIP_2) | instid1(VALU_DEP_2)
	v_dual_mul_f32 v192, 0x3f52af12, v192 :: v_dual_add_f32 v179, v179, v189
	v_mul_f32_e32 v189, 0xbf788fa5, v109
	v_mul_f32_e32 v109, 0x3f116cb1, v109
	v_fmamk_f32 v184, v108, 0xbe750f2a, v189
	s_delay_alu instid0(VALU_DEP_1) | instskip(SKIP_1) | instid1(VALU_DEP_2)
	v_dual_fmac_f32 v189, 0x3e750f2a, v108 :: v_dual_add_f32 v184, v184, v185
	v_fmamk_f32 v185, v194, 0x3f116cb1, v192
	v_add_f32_e32 v189, v189, v190
	s_delay_alu instid0(VALU_DEP_2) | instskip(SKIP_3) | instid1(VALU_DEP_2)
	v_dual_add_f32 v190, v112, v110 :: v_dual_add_f32 v185, v185, v188
	v_fmamk_f32 v188, v108, 0xbf52af12, v109
	v_fmac_f32_e32 v178, 0x3eedf032, v108
	v_fmac_f32_e32 v109, 0x3f52af12, v108
	v_dual_add_f32 v181, v188, v181 :: v_dual_add_f32 v178, v178, v180
	s_delay_alu instid0(VALU_DEP_2) | instskip(NEXT) | instid1(VALU_DEP_1)
	v_dual_fmamk_f32 v180, v108, 0x3f7e222b, v195 :: v_dual_add_f32 v109, v109, v117
	v_add_f32_e32 v180, v180, v186
	v_fmamk_f32 v186, v194, 0xbf788fa5, v183
	v_fma_f32 v183, 0xbf788fa5, v194, -v183
	v_fmac_f32_e32 v195, 0xbf7e222b, v108
	v_sub_f32_e32 v108, v110, v112
	s_delay_alu instid0(VALU_DEP_4) | instskip(NEXT) | instid1(VALU_DEP_4)
	v_add_f32_e32 v186, v186, v191
	v_add_f32_e32 v183, v183, v187
	v_sub_f32_e32 v187, v111, v113
	v_dual_add_f32 v111, v113, v111 :: v_dual_add_f32 v160, v195, v160
	s_delay_alu instid0(VALU_DEP_2) | instskip(NEXT) | instid1(VALU_DEP_2)
	v_mul_f32_e32 v191, 0xbf29c268, v187
	v_mul_f32_e32 v112, 0xbf3f9e67, v111
	;; [unrolled: 1-line block ×3, first 2 shown]
	s_delay_alu instid0(VALU_DEP_3) | instskip(SKIP_2) | instid1(VALU_DEP_3)
	v_fma_f32 v117, 0xbf3f9e67, v190, -v191
	v_fmamk_f32 v110, v190, 0xbf3f9e67, v191
	v_mul_f32_e32 v191, 0xbf788fa5, v111
	v_add_f32_e32 v117, v117, v121
	v_fma_f32 v113, 0x3f116cb1, v194, -v192
	s_delay_alu instid0(VALU_DEP_4) | instskip(SKIP_2) | instid1(VALU_DEP_4)
	v_add_f32_e32 v110, v110, v114
	v_fmamk_f32 v114, v108, 0x3f29c268, v112
	v_mul_f32_e32 v121, 0xbf52af12, v187
	v_add_f32_e32 v113, v113, v115
	s_delay_alu instid0(VALU_DEP_3) | instskip(NEXT) | instid1(VALU_DEP_1)
	v_dual_mul_f32 v115, 0x3f7e222b, v187 :: v_dual_add_f32 v114, v114, v118
	v_fmamk_f32 v118, v190, 0x3df6dbef, v115
	v_fma_f32 v115, 0x3df6dbef, v190, -v115
	s_delay_alu instid0(VALU_DEP_1) | instskip(NEXT) | instid1(VALU_DEP_3)
	v_dual_add_f32 v115, v115, v119 :: v_dual_fmac_f32 v112, 0xbf29c268, v108
	v_add_f32_e32 v118, v118, v122
	v_mul_f32_e32 v122, 0x3f116cb1, v111
	s_delay_alu instid0(VALU_DEP_3) | instskip(SKIP_2) | instid1(VALU_DEP_2)
	v_add_f32_e32 v112, v112, v116
	v_fmamk_f32 v116, v108, 0xbf7e222b, v188
	v_fmac_f32_e32 v188, 0x3f7e222b, v108
	v_add_f32_e32 v116, v116, v120
	s_delay_alu instid0(VALU_DEP_2) | instskip(SKIP_2) | instid1(VALU_DEP_3)
	v_dual_fmamk_f32 v120, v190, 0x3f116cb1, v121 :: v_dual_add_f32 v119, v188, v123
	v_mul_f32_e32 v123, 0x3e750f2a, v187
	v_fma_f32 v121, 0x3f116cb1, v190, -v121
	v_add_f32_e32 v120, v120, v125
	v_fmamk_f32 v125, v108, 0x3f52af12, v122
	v_fmac_f32_e32 v122, 0xbf52af12, v108
	s_delay_alu instid0(VALU_DEP_4) | instskip(SKIP_1) | instid1(VALU_DEP_3)
	v_dual_fmamk_f32 v188, v190, 0xbf788fa5, v123 :: v_dual_add_f32 v121, v121, v124
	v_fma_f32 v123, 0xbf788fa5, v190, -v123
	v_dual_add_f32 v125, v125, v179 :: v_dual_add_f32 v122, v122, v178
	v_mul_f32_e32 v179, 0x3f62ad3f, v111
	s_delay_alu instid0(VALU_DEP_4) | instskip(SKIP_4) | instid1(VALU_DEP_3)
	v_add_f32_e32 v124, v188, v159
	v_fmamk_f32 v159, v108, 0xbe750f2a, v191
	v_fmac_f32_e32 v191, 0x3e750f2a, v108
	v_dual_mul_f32 v178, 0x3eedf032, v187 :: v_dual_add_f32 v123, v123, v182
	v_fmamk_f32 v182, v108, 0xbeedf032, v179
	v_dual_mul_f32 v187, 0xbf6f5d39, v187 :: v_dual_add_f32 v160, v191, v160
	v_fmac_f32_e32 v179, 0x3eedf032, v108
	v_add_f32_e32 v159, v159, v180
	s_delay_alu instid0(VALU_DEP_4) | instskip(NEXT) | instid1(VALU_DEP_3)
	v_dual_add_f32 v182, v182, v184 :: v_dual_mul_f32 v111, 0xbeb58ec6, v111
	v_dual_fmamk_f32 v184, v190, 0xbeb58ec6, v187 :: v_dual_add_f32 v179, v179, v189
	v_dual_add_f32 v189, v107, v105 :: v_dual_fmamk_f32 v180, v190, 0x3f62ad3f, v178
	v_fma_f32 v178, 0x3f62ad3f, v190, -v178
	s_delay_alu instid0(VALU_DEP_3) | instskip(SKIP_1) | instid1(VALU_DEP_3)
	v_add_f32_e32 v184, v184, v185
	v_fmamk_f32 v185, v108, 0x3f6f5d39, v111
	v_dual_fmac_f32 v111, 0xbf6f5d39, v108 :: v_dual_add_f32 v178, v178, v183
	v_sub_f32_e32 v183, v105, v107
	v_fma_f32 v105, 0xbeb58ec6, v190, -v187
	v_sub_f32_e32 v187, v104, v106
	v_mul_f32_e32 v107, 0xbf788fa5, v189
	v_add_f32_e32 v190, v111, v109
	v_mul_f32_e32 v188, 0xbe750f2a, v183
	v_dual_mul_f32 v111, 0x3f62ad3f, v189 :: v_dual_add_f32 v180, v180, v186
	v_dual_add_f32 v186, v106, v104 :: v_dual_mul_f32 v109, 0x3eedf032, v183
	v_add_f32_e32 v181, v185, v181
	v_add_f32_e32 v185, v105, v113
	v_fmamk_f32 v105, v187, 0x3e750f2a, v107
	s_delay_alu instid0(VALU_DEP_4)
	v_fmamk_f32 v104, v186, 0xbf788fa5, v188
	v_fmac_f32_e32 v107, 0xbe750f2a, v187
	v_fmamk_f32 v108, v186, 0x3f62ad3f, v109
	v_mul_f32_e32 v113, 0xbf29c268, v183
	v_add_f32_e32 v105, v105, v114
	v_add_f32_e32 v104, v104, v110
	v_fmamk_f32 v110, v187, 0xbeedf032, v111
	v_add_f32_e32 v107, v107, v112
	v_fma_f32 v112, 0x3f62ad3f, v186, -v109
	v_dual_add_f32 v108, v108, v118 :: v_dual_fmac_f32 v111, 0x3eedf032, v187
	s_delay_alu instid0(VALU_DEP_4)
	v_add_f32_e32 v109, v110, v116
	v_fma_f32 v106, 0xbf788fa5, v186, -v188
	v_fmamk_f32 v114, v186, 0xbf3f9e67, v113
	v_mul_f32_e32 v116, 0xbf3f9e67, v189
	v_add_f32_e32 v110, v112, v115
	v_add_f32_e32 v111, v111, v119
	v_mul_f32_e32 v119, 0x3f116cb1, v189
	v_dual_add_f32 v106, v106, v117 :: v_dual_mul_f32 v117, 0x3f52af12, v183
	v_add_f32_e32 v112, v114, v120
	v_fmamk_f32 v114, v187, 0x3f29c268, v116
	v_fma_f32 v115, 0xbf3f9e67, v186, -v113
	v_fmac_f32_e32 v116, 0xbf29c268, v187
	v_fmamk_f32 v118, v186, 0x3f116cb1, v117
	s_delay_alu instid0(VALU_DEP_4) | instskip(NEXT) | instid1(VALU_DEP_4)
	v_dual_mul_f32 v120, 0xbf6f5d39, v183 :: v_dual_add_f32 v113, v114, v125
	v_dual_add_f32 v114, v115, v121 :: v_dual_mul_f32 v125, 0x3f7e222b, v183
	s_delay_alu instid0(VALU_DEP_3)
	v_dual_add_f32 v115, v116, v122 :: v_dual_add_f32 v116, v118, v124
	v_fmamk_f32 v118, v187, 0xbf52af12, v119
	v_fma_f32 v121, 0x3f116cb1, v186, -v117
	v_fmac_f32_e32 v119, 0x3f52af12, v187
	v_mul_f32_e32 v124, 0xbeb58ec6, v189
	v_fmamk_f32 v122, v186, 0xbeb58ec6, v120
	v_add_f32_e32 v117, v118, v159
	v_dual_add_f32 v118, v121, v123 :: v_dual_fmamk_f32 v159, v186, 0x3df6dbef, v125
	v_add_f32_e32 v119, v119, v160
	v_fma_f32 v123, 0xbeb58ec6, v186, -v120
	v_mul_f32_e32 v160, 0x3df6dbef, v189
	v_dual_fmamk_f32 v121, v187, 0x3f6f5d39, v124 :: v_dual_add_f32 v120, v122, v180
	v_fmac_f32_e32 v124, 0xbf6f5d39, v187
	s_delay_alu instid0(VALU_DEP_4) | instskip(NEXT) | instid1(VALU_DEP_4)
	v_add_f32_e32 v122, v123, v178
	v_fmamk_f32 v178, v187, 0xbf7e222b, v160
	v_fma_f32 v180, 0x3df6dbef, v186, -v125
	v_dual_fmac_f32 v160, 0x3f7e222b, v187 :: v_dual_add_f32 v121, v121, v182
	v_dual_add_f32 v123, v124, v179 :: v_dual_add_f32 v124, v159, v184
	s_delay_alu instid0(VALU_DEP_4) | instskip(NEXT) | instid1(VALU_DEP_4)
	v_add_f32_e32 v125, v178, v181
	v_add_f32_e32 v159, v180, v185
	s_delay_alu instid0(VALU_DEP_4)
	v_add_f32_e32 v160, v160, v190
	ds_store_2addr_b64 v177, v[126:127], v[104:105] offset1:1
	ds_store_2addr_b64 v177, v[108:109], v[112:113] offset0:2 offset1:3
	ds_store_2addr_b64 v177, v[116:117], v[120:121] offset0:4 offset1:5
	;; [unrolled: 1-line block ×5, first 2 shown]
	ds_store_b64 v177, v[106:107] offset:96
	s_and_saveexec_b32 s0, vcc_lo
	s_cbranch_execz .LBB0_13
; %bb.12:
	v_dual_add_f32 v124, v158, v103 :: v_dual_add_f32 v125, v23, v25
	v_dual_sub_f32 v114, v102, v157 :: v_dual_sub_f32 v111, v24, v22
	s_delay_alu instid0(VALU_DEP_2) | instskip(NEXT) | instid1(VALU_DEP_3)
	v_dual_add_f32 v126, v21, v27 :: v_dual_mul_f32 v127, 0xbf788fa5, v124
	v_dual_mul_f32 v160, 0x3f62ad3f, v125 :: v_dual_sub_f32 v113, v34, v28
	v_dual_sub_f32 v112, v26, v20 :: v_dual_add_f32 v159, v31, v33
	s_delay_alu instid0(VALU_DEP_3) | instskip(NEXT) | instid1(VALU_DEP_4)
	v_dual_fmamk_f32 v104, v114, 0x3e750f2a, v127 :: v_dual_sub_f32 v179, v103, v158
	v_dual_mul_f32 v178, 0xbf3f9e67, v126 :: v_dual_sub_f32 v187, v33, v31
	s_delay_alu instid0(VALU_DEP_2) | instskip(SKIP_2) | instid1(VALU_DEP_4)
	v_dual_fmamk_f32 v105, v111, 0xbeedf032, v160 :: v_dual_add_f32 v104, v101, v104
	v_dual_sub_f32 v110, v32, v30 :: v_dual_add_f32 v177, v29, v35
	v_dual_add_f32 v115, v157, v102 :: v_dual_mul_f32 v180, 0x3f116cb1, v159
	v_dual_fmamk_f32 v106, v112, 0x3f29c268, v178 :: v_dual_add_f32 v119, v30, v32
	s_delay_alu instid0(VALU_DEP_4) | instskip(NEXT) | instid1(VALU_DEP_3)
	v_dual_add_f32 v104, v105, v104 :: v_dual_mul_f32 v181, 0xbe750f2a, v179
	v_dual_sub_f32 v182, v25, v23 :: v_dual_fmamk_f32 v105, v110, 0xbf52af12, v180
	v_add_f32_e32 v116, v22, v24
	s_delay_alu instid0(VALU_DEP_3) | instskip(NEXT) | instid1(VALU_DEP_4)
	v_dual_add_f32 v104, v106, v104 :: v_dual_mul_f32 v185, 0xbeb58ec6, v177
	v_dual_fmamk_f32 v106, v115, 0xbf788fa5, v181 :: v_dual_add_f32 v117, v20, v26
	s_delay_alu instid0(VALU_DEP_4) | instskip(NEXT) | instid1(VALU_DEP_2)
	v_dual_mul_f32 v183, 0x3eedf032, v182 :: v_dual_sub_f32 v184, v27, v21
	v_dual_add_f32 v104, v105, v104 :: v_dual_add_f32 v105, v100, v106
	s_delay_alu instid0(VALU_DEP_4) | instskip(NEXT) | instid1(VALU_DEP_3)
	v_dual_fmamk_f32 v107, v113, 0x3f6f5d39, v185 :: v_dual_add_f32 v188, v39, v37
	v_dual_fmamk_f32 v106, v116, 0x3f62ad3f, v183 :: v_dual_sub_f32 v191, v35, v29
	v_dual_mul_f32 v189, 0x3f52af12, v187 :: v_dual_sub_f32 v118, v36, v38
	s_delay_alu instid0(VALU_DEP_3) | instskip(NEXT) | instid1(VALU_DEP_3)
	v_dual_mul_f32 v190, 0x3df6dbef, v188 :: v_dual_sub_f32 v195, v37, v39
	v_dual_add_f32 v105, v106, v105 :: v_dual_mul_f32 v186, 0xbf29c268, v184
	v_dual_mul_f32 v193, 0xbf3f9e67, v124 :: v_dual_add_f32 v120, v28, v34
	s_delay_alu instid0(VALU_DEP_3) | instskip(NEXT) | instid1(VALU_DEP_3)
	v_dual_add_f32 v104, v107, v104 :: v_dual_fmamk_f32 v107, v118, 0xbf7e222b, v190
	v_fmamk_f32 v106, v117, 0xbf3f9e67, v186
	s_delay_alu instid0(VALU_DEP_3) | instskip(SKIP_2) | instid1(VALU_DEP_4)
	v_fmamk_f32 v109, v114, 0x3f29c268, v193
	v_mul_f32_e32 v192, 0xbf6f5d39, v191
	v_dual_mul_f32 v194, 0x3df6dbef, v125 :: v_dual_add_f32 v121, v38, v36
	v_dual_add_f32 v105, v106, v105 :: v_dual_fmamk_f32 v106, v119, 0x3f116cb1, v189
	v_mul_f32_e32 v197, 0x3f7e222b, v195
	v_mul_f32_e32 v198, 0xbf29c268, v179
	;; [unrolled: 1-line block ×4, first 2 shown]
	v_dual_add_f32 v106, v106, v105 :: v_dual_add_f32 v105, v107, v104
	v_fmamk_f32 v107, v111, 0xbf7e222b, v194
	v_fmamk_f32 v108, v120, 0xbeb58ec6, v192
	v_mul_f32_e32 v211, 0x3df6dbef, v159
	v_mul_f32_e32 v199, 0xbf788fa5, v159
	;; [unrolled: 1-line block ×4, first 2 shown]
	v_add_f32_e32 v104, v108, v106
	v_add_f32_e32 v106, v101, v109
	v_fmamk_f32 v108, v121, 0x3df6dbef, v197
	v_fmamk_f32 v109, v115, 0xbf3f9e67, v198
	;; [unrolled: 1-line block ×3, first 2 shown]
	v_dual_mul_f32 v206, 0x3eedf032, v191 :: v_dual_mul_f32 v215, 0x3eedf032, v184
	v_add_f32_e32 v106, v107, v106
	v_add_f32_e32 v104, v108, v104
	;; [unrolled: 1-line block ×3, first 2 shown]
	v_fmamk_f32 v107, v112, 0x3f52af12, v196
	v_dual_fmamk_f32 v123, v120, 0x3f62ad3f, v206 :: v_dual_mul_f32 v208, 0x3f62ad3f, v126
	v_mul_f32_e32 v210, 0xbf6f5d39, v179
	s_delay_alu instid0(VALU_DEP_4) | instskip(NEXT) | instid1(VALU_DEP_4)
	v_add_f32_e32 v108, v122, v109
	v_dual_add_f32 v106, v107, v106 :: v_dual_fmamk_f32 v107, v110, 0xbe750f2a, v199
	v_mul_f32_e32 v201, 0x3f62ad3f, v177
	v_fmamk_f32 v122, v114, 0x3f6f5d39, v205
	v_mul_f32_e32 v203, 0x3e750f2a, v187
	v_mul_f32_e32 v204, 0xbeb58ec6, v188
	s_delay_alu instid0(VALU_DEP_4) | instskip(SKIP_3) | instid1(VALU_DEP_4)
	v_dual_add_f32 v106, v107, v106 :: v_dual_fmamk_f32 v107, v113, 0xbeedf032, v201
	v_fmamk_f32 v109, v117, 0x3f116cb1, v202
	v_mul_f32_e32 v213, 0xbf788fa5, v177
	v_mul_f32_e32 v209, 0xbf6f5d39, v195
	v_dual_mul_f32 v223, 0xbf7e222b, v179 :: v_dual_add_f32 v106, v107, v106
	s_delay_alu instid0(VALU_DEP_4) | instskip(SKIP_2) | instid1(VALU_DEP_4)
	v_dual_add_f32 v107, v109, v108 :: v_dual_fmamk_f32 v108, v119, 0xbf788fa5, v203
	v_mul_f32_e32 v207, 0xbf3f9e67, v125
	v_mul_f32_e32 v221, 0xbeb58ec6, v126
	v_fmamk_f32 v225, v115, 0x3df6dbef, v223
	v_fmamk_f32 v216, v113, 0xbe750f2a, v213
	v_add_f32_e32 v108, v108, v107
	v_dual_mul_f32 v230, 0xbf3f9e67, v188 :: v_dual_mul_f32 v237, 0xbf3f9e67, v159
	v_mul_f32_e32 v217, 0x3df6dbef, v124
	s_delay_alu instid0(VALU_DEP_3) | instskip(SKIP_2) | instid1(VALU_DEP_4)
	v_dual_add_f32 v225, v100, v225 :: v_dual_add_f32 v108, v123, v108
	v_fmamk_f32 v123, v115, 0xbeb58ec6, v210
	v_fmamk_f32 v109, v118, 0x3f6f5d39, v204
	;; [unrolled: 1-line block ×3, first 2 shown]
	v_mul_f32_e32 v212, 0x3f29c268, v182
	v_mul_f32_e32 v231, 0x3f116cb1, v124
	v_add_f32_e32 v123, v100, v123
	v_add_f32_e32 v107, v109, v106
	;; [unrolled: 1-line block ×3, first 2 shown]
	v_fmamk_f32 v122, v121, 0xbeb58ec6, v209
	v_fmamk_f32 v109, v111, 0xbf29c268, v207
	;; [unrolled: 1-line block ×3, first 2 shown]
	v_dual_mul_f32 v222, 0x3f52af12, v195 :: v_dual_fmamk_f32 v233, v114, 0x3f52af12, v231
	v_mul_f32_e32 v220, 0xbf788fa5, v125
	s_delay_alu instid0(VALU_DEP_4) | instskip(NEXT) | instid1(VALU_DEP_3)
	v_dual_add_f32 v106, v109, v106 :: v_dual_fmamk_f32 v109, v112, 0xbeedf032, v208
	v_dual_fmamk_f32 v224, v121, 0x3f116cb1, v222 :: v_dual_mul_f32 v227, 0x3f116cb1, v177
	v_fmamk_f32 v232, v118, 0x3f29c268, v230
	v_mul_f32_e32 v218, 0x3e750f2a, v191
	s_delay_alu instid0(VALU_DEP_4)
	v_dual_add_f32 v106, v109, v106 :: v_dual_fmamk_f32 v109, v110, 0x3f7e222b, v211
	v_mul_f32_e32 v236, 0xbf52af12, v179
	v_mul_f32_e32 v241, 0x3df6dbef, v177
	;; [unrolled: 1-line block ×3, first 2 shown]
	v_add_f32_e32 v103, v103, v101
	v_dual_add_f32 v109, v109, v106 :: v_dual_add_f32 v106, v122, v108
	v_add_f32_e32 v108, v214, v123
	v_fmamk_f32 v122, v117, 0x3f62ad3f, v215
	s_delay_alu instid0(VALU_DEP_3) | instskip(SKIP_3) | instid1(VALU_DEP_3)
	v_dual_mul_f32 v214, 0xbf7e222b, v187 :: v_dual_add_f32 v109, v216, v109
	v_dual_mul_f32 v216, 0x3f116cb1, v188 :: v_dual_fmamk_f32 v239, v115, 0x3f116cb1, v236
	v_dual_mul_f32 v226, 0xbe750f2a, v182 :: v_dual_add_f32 v25, v25, v103
	v_mul_f32_e32 v234, 0xbeb58ec6, v125
	v_fmamk_f32 v123, v118, 0xbf52af12, v216
	s_delay_alu instid0(VALU_DEP_4) | instskip(NEXT) | instid1(VALU_DEP_4)
	v_add_f32_e32 v239, v100, v239
	v_dual_fmamk_f32 v228, v116, 0xbf788fa5, v226 :: v_dual_add_f32 v25, v27, v25
	s_delay_alu instid0(VALU_DEP_3)
	v_dual_fmamk_f32 v244, v113, 0xbf7e222b, v241 :: v_dual_add_f32 v109, v123, v109
	v_add_f32_e32 v123, v101, v219
	v_dual_fmamk_f32 v219, v111, 0x3e750f2a, v220 :: v_dual_add_f32 v108, v122, v108
	v_fmamk_f32 v122, v119, 0x3df6dbef, v214
	v_dual_add_f32 v102, v102, v100 :: v_dual_fmac_f32 v193, 0xbf29c268, v114
	v_fmac_f32_e32 v196, 0xbf52af12, v112
	v_fmac_f32_e32 v204, 0xbf6f5d39, v118
	s_delay_alu instid0(VALU_DEP_4) | instskip(SKIP_4) | instid1(VALU_DEP_4)
	v_add_f32_e32 v108, v122, v108
	v_dual_fmamk_f32 v122, v120, 0xbf788fa5, v218 :: v_dual_add_f32 v25, v33, v25
	v_fmac_f32_e32 v190, 0x3f7e222b, v118
	v_fmac_f32_e32 v208, 0x3eedf032, v112
	;; [unrolled: 1-line block ×3, first 2 shown]
	v_add_f32_e32 v108, v122, v108
	v_dual_add_f32 v122, v219, v123 :: v_dual_fmamk_f32 v123, v112, 0xbf6f5d39, v221
	v_mul_f32_e32 v219, 0x3f62ad3f, v159
	s_delay_alu instid0(VALU_DEP_3) | instskip(SKIP_1) | instid1(VALU_DEP_3)
	v_dual_mul_f32 v159, 0xbeb58ec6, v159 :: v_dual_add_f32 v108, v224, v108
	v_add_f32_e32 v224, v228, v225
	v_dual_add_f32 v122, v123, v122 :: v_dual_fmamk_f32 v123, v110, 0xbeedf032, v219
	v_dual_mul_f32 v228, 0x3eedf032, v187 :: v_dual_add_f32 v25, v35, v25
	v_mul_f32_e32 v240, 0xbf6f5d39, v182
	s_delay_alu instid0(VALU_DEP_3) | instskip(SKIP_1) | instid1(VALU_DEP_3)
	v_dual_mul_f32 v35, 0xbf7e222b, v184 :: v_dual_add_f32 v122, v123, v122
	v_fmamk_f32 v123, v113, 0x3f52af12, v227
	v_dual_add_f32 v25, v37, v25 :: v_dual_fmamk_f32 v242, v116, 0xbeb58ec6, v240
	v_mul_f32_e32 v247, 0x3f116cb1, v125
	v_fmac_f32_e32 v230, 0xbf29c268, v118
	s_delay_alu instid0(VALU_DEP_4) | instskip(NEXT) | instid1(VALU_DEP_4)
	v_dual_add_f32 v122, v123, v122 :: v_dual_fmamk_f32 v225, v117, 0xbeb58ec6, v229
	v_add_f32_e32 v25, v39, v25
	v_dual_mul_f32 v37, 0xbf788fa5, v188 :: v_dual_add_f32 v24, v24, v102
	v_fma_f32 v39, 0x3f116cb1, v121, -v222
	s_delay_alu instid0(VALU_DEP_4) | instskip(NEXT) | instid1(VALU_DEP_4)
	v_dual_add_f32 v123, v225, v224 :: v_dual_fmamk_f32 v224, v119, 0x3f62ad3f, v228
	v_add_f32_e32 v25, v29, v25
	s_delay_alu instid0(VALU_DEP_4) | instskip(SKIP_1) | instid1(VALU_DEP_4)
	v_fmamk_f32 v29, v118, 0x3e750f2a, v37
	v_dual_add_f32 v24, v26, v24 :: v_dual_fmac_f32 v199, 0x3e750f2a, v110
	v_add_f32_e32 v224, v224, v123
	v_mul_f32_e32 v225, 0xbf52af12, v191
	v_dual_add_f32 v123, v232, v122 :: v_dual_add_f32 v122, v101, v233
	v_fmamk_f32 v232, v111, 0x3f6f5d39, v234
	v_mul_f32_e32 v233, 0xbf788fa5, v126
	s_delay_alu instid0(VALU_DEP_4) | instskip(SKIP_1) | instid1(VALU_DEP_4)
	v_fmamk_f32 v235, v120, 0x3f116cb1, v225
	v_dual_add_f32 v25, v31, v25 :: v_dual_mul_f32 v126, 0x3df6dbef, v126
	v_add_f32_e32 v122, v232, v122
	s_delay_alu instid0(VALU_DEP_4) | instskip(NEXT) | instid1(VALU_DEP_4)
	v_fmamk_f32 v232, v112, 0x3e750f2a, v233
	v_dual_add_f32 v224, v235, v224 :: v_dual_mul_f32 v235, 0xbf29c268, v195
	s_delay_alu instid0(VALU_DEP_4) | instskip(NEXT) | instid1(VALU_DEP_3)
	v_add_f32_e32 v25, v21, v25
	v_dual_mul_f32 v179, 0xbeedf032, v179 :: v_dual_add_f32 v122, v232, v122
	v_fmamk_f32 v232, v110, 0xbf29c268, v237
	s_delay_alu instid0(VALU_DEP_4)
	v_fmamk_f32 v238, v121, 0xbf3f9e67, v235
	v_mul_f32_e32 v243, 0xbe750f2a, v184
	v_add_f32_e32 v23, v23, v25
	v_fma_f32 v25, 0xbf788fa5, v115, -v181
	v_add_f32_e32 v232, v232, v122
	v_add_f32_e32 v122, v238, v224
	;; [unrolled: 1-line block ×3, first 2 shown]
	v_mul_f32_e32 v242, 0x3f62ad3f, v188
	v_fmamk_f32 v238, v117, 0xbf788fa5, v243
	v_dual_mul_f32 v239, 0x3f29c268, v187 :: v_dual_add_f32 v232, v244, v232
	v_mul_f32_e32 v244, 0x3f62ad3f, v124
	s_delay_alu instid0(VALU_DEP_4) | instskip(SKIP_2) | instid1(VALU_DEP_3)
	v_fmamk_f32 v245, v118, 0xbeedf032, v242
	v_add_f32_e32 v25, v100, v25
	v_dual_fmac_f32 v127, 0xbe750f2a, v114 :: v_dual_add_f32 v24, v32, v24
	v_dual_fmamk_f32 v246, v114, 0x3eedf032, v244 :: v_dual_add_f32 v125, v245, v232
	v_dual_fmamk_f32 v245, v111, 0x3f52af12, v247 :: v_dual_add_f32 v124, v238, v224
	v_fmamk_f32 v224, v119, 0xbf3f9e67, v239
	v_mul_f32_e32 v238, 0x3f7e222b, v191
	s_delay_alu instid0(VALU_DEP_4)
	v_add_f32_e32 v232, v101, v246
	v_fmac_f32_e32 v244, 0xbeedf032, v114
	v_fmac_f32_e32 v194, 0x3f7e222b, v111
	v_fmamk_f32 v102, v115, 0x3f62ad3f, v179
	v_dual_add_f32 v24, v34, v24 :: v_dual_fmac_f32 v201, 0x3eedf032, v113
	v_dual_add_f32 v232, v245, v232 :: v_dual_fmamk_f32 v245, v112, 0x3f7e222b, v126
	v_add_f32_e32 v124, v224, v124
	s_delay_alu instid0(VALU_DEP_4) | instskip(SKIP_1) | instid1(VALU_DEP_4)
	v_add_f32_e32 v26, v100, v102
	v_dual_fmamk_f32 v224, v120, 0x3df6dbef, v238 :: v_dual_add_f32 v23, v158, v23
	v_dual_add_f32 v103, v245, v232 :: v_dual_fmamk_f32 v232, v110, 0x3f6f5d39, v159
	v_dual_add_f32 v24, v36, v24 :: v_dual_fmac_f32 v211, 0xbf7e222b, v110
	s_delay_alu instid0(VALU_DEP_3) | instskip(NEXT) | instid1(VALU_DEP_3)
	v_dual_add_f32 v124, v224, v124 :: v_dual_mul_f32 v33, 0xbf52af12, v182
	v_add_f32_e32 v27, v232, v103
	v_mul_f32_e32 v103, 0xbf3f9e67, v177
	v_mul_f32_e32 v224, 0x3eedf032, v195
	v_dual_add_f32 v24, v38, v24 :: v_dual_fmac_f32 v217, 0xbf7e222b, v114
	v_fmamk_f32 v32, v116, 0x3f116cb1, v33
	s_delay_alu instid0(VALU_DEP_4) | instskip(SKIP_1) | instid1(VALU_DEP_4)
	v_fmamk_f32 v102, v113, 0x3f29c268, v103
	v_dual_mul_f32 v34, 0xbf6f5d39, v187 :: v_dual_fmac_f32 v205, 0xbf6f5d39, v114
	v_dual_add_f32 v24, v28, v24 :: v_dual_fmac_f32 v231, 0xbf52af12, v114
	s_delay_alu instid0(VALU_DEP_3) | instskip(SKIP_2) | instid1(VALU_DEP_4)
	v_add_f32_e32 v27, v102, v27
	v_fmac_f32_e32 v207, 0x3f29c268, v111
	v_fmac_f32_e32 v220, 0xbe750f2a, v111
	v_add_f32_e32 v24, v30, v24
	s_delay_alu instid0(VALU_DEP_4)
	v_dual_fmac_f32 v242, 0x3eedf032, v118 :: v_dual_add_f32 v21, v29, v27
	v_add_f32_e32 v27, v101, v193
	v_add_f32_e32 v30, v101, v205
	v_fmac_f32_e32 v213, 0x3e750f2a, v113
	v_mul_f32_e32 v36, 0xbf29c268, v191
	v_add_f32_e32 v102, v101, v231
	s_delay_alu instid0(VALU_DEP_4) | instskip(SKIP_2) | instid1(VALU_DEP_3)
	v_dual_add_f32 v27, v194, v27 :: v_dual_add_f32 v30, v207, v30
	v_fmac_f32_e32 v234, 0xbf6f5d39, v111
	v_dual_add_f32 v24, v20, v24 :: v_dual_fmac_f32 v219, 0x3eedf032, v110
	v_add_f32_e32 v27, v196, v27
	s_delay_alu instid0(VALU_DEP_4) | instskip(SKIP_1) | instid1(VALU_DEP_3)
	v_dual_add_f32 v30, v208, v30 :: v_dual_fmac_f32 v221, 0x3f6f5d39, v112
	v_fmamk_f32 v28, v120, 0xbf3f9e67, v36
	v_dual_add_f32 v102, v234, v102 :: v_dual_add_f32 v27, v199, v27
	v_add_f32_e32 v26, v32, v26
	v_fmamk_f32 v32, v117, 0x3df6dbef, v35
	v_dual_add_f32 v30, v211, v30 :: v_dual_fmac_f32 v233, 0xbe750f2a, v112
	v_dual_add_f32 v22, v22, v24 :: v_dual_fmac_f32 v227, 0xbf52af12, v113
	s_delay_alu instid0(VALU_DEP_3) | instskip(NEXT) | instid1(VALU_DEP_3)
	v_add_f32_e32 v26, v32, v26
	v_add_f32_e32 v30, v213, v30
	v_fmamk_f32 v32, v119, 0xbeb58ec6, v34
	v_dual_add_f32 v24, v101, v127 :: v_dual_fmac_f32 v237, 0x3f29c268, v110
	v_dual_add_f32 v102, v233, v102 :: v_dual_fmac_f32 v241, 0x3f7e222b, v113
	s_delay_alu instid0(VALU_DEP_3) | instskip(SKIP_1) | instid1(VALU_DEP_3)
	v_add_f32_e32 v26, v32, v26
	v_mul_f32_e32 v32, 0xbe750f2a, v195
	v_dual_fmac_f32 v247, 0xbf52af12, v111 :: v_dual_add_f32 v102, v237, v102
	v_fmac_f32_e32 v160, 0x3eedf032, v111
	s_delay_alu instid0(VALU_DEP_4) | instskip(NEXT) | instid1(VALU_DEP_4)
	v_add_f32_e32 v26, v28, v26
	v_fmamk_f32 v28, v121, 0xbf788fa5, v32
	v_fmac_f32_e32 v178, 0xbf29c268, v112
	v_fma_f32 v33, 0x3f116cb1, v116, -v33
	v_add_f32_e32 v24, v160, v24
	v_fmac_f32_e32 v180, 0x3f52af12, v110
	v_add_f32_e32 v20, v28, v26
	v_fma_f32 v26, 0x3f62ad3f, v116, -v183
	s_delay_alu instid0(VALU_DEP_4) | instskip(SKIP_2) | instid1(VALU_DEP_4)
	v_dual_fmac_f32 v185, 0xbf6f5d39, v113 :: v_dual_add_f32 v24, v178, v24
	v_fmac_f32_e32 v159, 0xbf6f5d39, v110
	v_fma_f32 v35, 0x3df6dbef, v117, -v35
	v_add_f32_e32 v25, v26, v25
	v_fma_f32 v26, 0xbf3f9e67, v117, -v186
	v_fmamk_f32 v246, v121, 0x3f62ad3f, v224
	v_add_f32_e32 v24, v180, v24
	v_fma_f32 v28, 0x3df6dbef, v121, -v197
	v_fma_f32 v29, 0xbf3f9e67, v115, -v198
	v_add_f32_e32 v25, v26, v25
	v_fma_f32 v26, 0x3f116cb1, v119, -v189
	v_add_f32_e32 v124, v246, v124
	v_dual_add_f32 v24, v185, v24 :: v_dual_fmac_f32 v37, 0xbe750f2a, v118
	v_fma_f32 v31, 0xbf3f9e67, v116, -v212
	s_delay_alu instid0(VALU_DEP_4)
	v_add_f32_e32 v25, v26, v25
	v_fma_f32 v26, 0xbeb58ec6, v120, -v192
	v_fma_f32 v38, 0xbf788fa5, v120, -v218
	;; [unrolled: 1-line block ×4, first 2 shown]
	v_fmac_f32_e32 v126, 0xbf7e222b, v112
	v_add_f32_e32 v26, v26, v25
	v_add_f32_e32 v25, v190, v24
	v_fma_f32 v34, 0xbeb58ec6, v119, -v34
	s_delay_alu instid0(VALU_DEP_3) | instskip(SKIP_3) | instid1(VALU_DEP_3)
	v_dual_fmac_f32 v103, 0xbf29c268, v113 :: v_dual_add_f32 v24, v28, v26
	v_add_f32_e32 v26, v201, v27
	v_add_f32_e32 v28, v100, v29
	v_fma_f32 v29, 0x3df6dbef, v116, -v200
	v_add_f32_e32 v27, v204, v26
	v_fma_f32 v26, 0xbeb58ec6, v115, -v210
	s_delay_alu instid0(VALU_DEP_3) | instskip(SKIP_1) | instid1(VALU_DEP_3)
	v_add_f32_e32 v28, v29, v28
	v_fma_f32 v29, 0x3f116cb1, v117, -v202
	v_add_f32_e32 v26, v100, v26
	s_delay_alu instid0(VALU_DEP_2) | instskip(SKIP_1) | instid1(VALU_DEP_3)
	v_add_f32_e32 v28, v29, v28
	v_fma_f32 v29, 0xbf788fa5, v119, -v203
	v_add_f32_e32 v26, v31, v26
	v_fma_f32 v31, 0x3f62ad3f, v117, -v215
	s_delay_alu instid0(VALU_DEP_3) | instskip(SKIP_1) | instid1(VALU_DEP_3)
	v_add_f32_e32 v28, v29, v28
	v_fma_f32 v29, 0x3f62ad3f, v120, -v206
	v_add_f32_e32 v26, v31, v26
	v_fma_f32 v31, 0x3df6dbef, v119, -v214
	s_delay_alu instid0(VALU_DEP_3) | instskip(SKIP_1) | instid1(VALU_DEP_1)
	v_add_f32_e32 v28, v29, v28
	v_fma_f32 v29, 0xbeb58ec6, v121, -v209
	v_dual_add_f32 v31, v31, v26 :: v_dual_add_f32 v26, v29, v28
	v_fma_f32 v28, 0x3df6dbef, v115, -v223
	s_delay_alu instid0(VALU_DEP_2) | instskip(SKIP_1) | instid1(VALU_DEP_3)
	v_dual_add_f32 v29, v216, v30 :: v_dual_add_f32 v30, v38, v31
	v_fma_f32 v38, 0xbf788fa5, v116, -v226
	v_dual_add_f32 v31, v101, v217 :: v_dual_add_f32 v28, v100, v28
	v_add_f32_e32 v101, v101, v244
	s_delay_alu instid0(VALU_DEP_2) | instskip(SKIP_1) | instid1(VALU_DEP_3)
	v_dual_add_f32 v31, v220, v31 :: v_dual_add_f32 v28, v38, v28
	v_fma_f32 v38, 0xbeb58ec6, v117, -v229
	v_add_f32_e32 v101, v247, v101
	s_delay_alu instid0(VALU_DEP_2) | instskip(SKIP_1) | instid1(VALU_DEP_3)
	v_dual_add_f32 v31, v221, v31 :: v_dual_add_f32 v28, v38, v28
	v_fma_f32 v38, 0x3f62ad3f, v119, -v228
	v_add_f32_e32 v101, v126, v101
	s_delay_alu instid0(VALU_DEP_2) | instskip(SKIP_1) | instid1(VALU_DEP_2)
	v_dual_add_f32 v31, v219, v31 :: v_dual_add_f32 v28, v38, v28
	v_fma_f32 v38, 0x3f116cb1, v120, -v225
	v_dual_add_f32 v31, v227, v31 :: v_dual_add_f32 v22, v157, v22
	s_delay_alu instid0(VALU_DEP_2) | instskip(NEXT) | instid1(VALU_DEP_2)
	v_add_f32_e32 v38, v38, v28
	v_dual_add_f32 v31, v230, v31 :: v_dual_add_f32 v28, v39, v30
	v_add_f32_e32 v39, v241, v102
	v_fma_f32 v102, 0x3f62ad3f, v115, -v179
	s_delay_alu instid0(VALU_DEP_4) | instskip(SKIP_1) | instid1(VALU_DEP_1)
	v_add_f32_e32 v30, v127, v38
	v_fma_f32 v38, 0x3f116cb1, v115, -v236
	v_add_f32_e32 v38, v100, v38
	s_delay_alu instid0(VALU_DEP_4) | instskip(SKIP_1) | instid1(VALU_DEP_2)
	v_add_f32_e32 v100, v100, v102
	v_fma_f32 v102, 0xbf788fa5, v117, -v243
	v_dual_add_f32 v38, v114, v38 :: v_dual_add_f32 v33, v33, v100
	v_fma_f32 v100, 0xbf3f9e67, v119, -v239
	s_delay_alu instid0(VALU_DEP_2) | instskip(NEXT) | instid1(VALU_DEP_1)
	v_dual_add_f32 v38, v102, v38 :: v_dual_add_f32 v33, v35, v33
	v_add_f32_e32 v35, v100, v38
	v_fma_f32 v38, 0x3df6dbef, v120, -v238
	v_add_f32_e32 v100, v159, v101
	s_delay_alu instid0(VALU_DEP_4) | instskip(SKIP_2) | instid1(VALU_DEP_4)
	v_add_f32_e32 v33, v34, v33
	v_fma_f32 v34, 0xbf3f9e67, v120, -v36
	v_fma_f32 v36, 0x3f62ad3f, v121, -v224
	v_dual_add_f32 v35, v38, v35 :: v_dual_add_f32 v38, v103, v100
	v_fma_f32 v100, 0xbf788fa5, v121, -v32
	s_delay_alu instid0(VALU_DEP_4) | instskip(SKIP_1) | instid1(VALU_DEP_4)
	v_dual_add_f32 v34, v34, v33 :: v_dual_lshlrev_b32 v101, 3, v163
	v_add_f32_e32 v33, v242, v39
	v_dual_add_f32 v32, v36, v35 :: v_dual_add_f32 v35, v37, v38
	s_delay_alu instid0(VALU_DEP_3)
	v_add_f32_e32 v34, v100, v34
	ds_store_2addr_b64 v101, v[22:23], v[20:21] offset1:1
	ds_store_2addr_b64 v101, v[124:125], v[122:123] offset0:2 offset1:3
	ds_store_2addr_b64 v101, v[108:109], v[106:107] offset0:4 offset1:5
	;; [unrolled: 1-line block ×5, first 2 shown]
	ds_store_b64 v101, v[34:35] offset:96
.LBB0_13:
	s_wait_alu 0xfffe
	s_or_b32 exec_lo, exec_lo, s0
	v_add_nc_u32_e32 v23, 0xc00, v161
	v_add_nc_u32_e32 v20, 0x2400, v161
	;; [unrolled: 1-line block ×3, first 2 shown]
	global_wb scope:SCOPE_SE
	s_wait_dscnt 0x0
	s_barrier_signal -1
	s_barrier_wait -1
	global_inv scope:SCOPE_SE
	ds_load_2addr_b64 v[26:29], v23 offset0:84 offset1:201
	ds_load_2addr_b64 v[30:33], v20 offset0:18 offset1:135
	;; [unrolled: 1-line block ×3, first 2 shown]
	v_add_nc_u32_e32 v24, 0x2800, v161
	s_mov_b32 s2, 0x68012abd
	s_mov_b32 s3, 0x3f42abd5
	s_wait_dscnt 0x2
	v_mul_f32_e32 v116, v17, v29
	s_wait_dscnt 0x0
	v_dual_mul_f32 v119, v15, v33 :: v_dual_mul_f32 v118, v13, v35
	v_mul_f32_e32 v15, v15, v32
	s_delay_alu instid0(VALU_DEP_3) | instskip(NEXT) | instid1(VALU_DEP_3)
	v_dual_fmac_f32 v116, v16, v28 :: v_dual_add_nc_u32 v25, 0x400, v161
	v_dual_fmac_f32 v118, v12, v34 :: v_dual_add_nc_u32 v21, 0x1c00, v161
	v_mul_f32_e32 v117, v19, v31
	v_mul_f32_e32 v19, v19, v30
	ds_load_2addr_b64 v[100:103], v161 offset1:117
	ds_load_b64 v[38:39], v161 offset:13104
	ds_load_2addr_b64 v[104:107], v25 offset0:106 offset1:223
	ds_load_2addr_b64 v[108:111], v24 offset0:124 offset1:241
	;; [unrolled: 1-line block ×3, first 2 shown]
	v_mul_f32_e32 v17, v17, v28
	global_wb scope:SCOPE_SE
	s_wait_dscnt 0x0
	v_fmac_f32_e32 v117, v18, v30
	v_mul_f32_e32 v13, v13, v34
	s_barrier_signal -1
	v_fma_f32 v16, v16, v29, -v17
	v_fma_f32 v17, v18, v31, -v19
	s_barrier_wait -1
	global_inv scope:SCOPE_SE
	v_mul_f32_e32 v31, v1, v115
	v_mul_f32_e32 v1, v1, v114
	s_delay_alu instid0(VALU_DEP_2) | instskip(NEXT) | instid1(VALU_DEP_2)
	v_fmac_f32_e32 v31, v0, v114
	v_fma_f32 v34, v0, v115, -v1
	v_add_f32_e32 v0, v116, v117
	v_fma_f32 v12, v12, v35, -v13
	v_mul_f32_e32 v19, v5, v113
	v_mul_f32_e32 v5, v5, v112
	v_add_f32_e32 v1, v100, v116
	v_fma_f32 v0, -0.5, v0, v100
	s_delay_alu instid0(VALU_DEP_4) | instskip(NEXT) | instid1(VALU_DEP_4)
	v_fmac_f32_e32 v19, v4, v112
	v_fma_f32 v30, v4, v113, -v5
	v_sub_f32_e32 v5, v16, v17
	s_delay_alu instid0(VALU_DEP_1) | instskip(SKIP_4) | instid1(VALU_DEP_3)
	v_dual_fmamk_f32 v4, v5, 0xbf5db3d7, v0 :: v_dual_fmac_f32 v119, v14, v32
	v_fma_f32 v14, v14, v33, -v15
	v_mul_f32_e32 v33, v3, v39
	v_dual_mul_f32 v3, v3, v38 :: v_dual_fmac_f32 v0, 0x3f5db3d7, v5
	v_mul_f32_e32 v15, v11, v109
	v_fmac_f32_e32 v33, v2, v38
	s_delay_alu instid0(VALU_DEP_3) | instskip(SKIP_4) | instid1(VALU_DEP_2)
	v_fma_f32 v35, v2, v39, -v3
	v_add_f32_e32 v2, v1, v117
	v_mul_f32_e32 v13, v9, v37
	v_mul_f32_e32 v9, v9, v36
	v_add_f32_e32 v3, v16, v17
	v_fma_f32 v18, v8, v37, -v9
	v_mul_f32_e32 v29, v7, v111
	v_mul_f32_e32 v7, v7, v110
	s_delay_alu instid0(VALU_DEP_4) | instskip(SKIP_1) | instid1(VALU_DEP_4)
	v_fma_f32 v1, -0.5, v3, v101
	v_sub_f32_e32 v9, v12, v14
	v_fmac_f32_e32 v29, v6, v110
	s_delay_alu instid0(VALU_DEP_4) | instskip(SKIP_1) | instid1(VALU_DEP_1)
	v_fma_f32 v32, v6, v111, -v7
	v_dual_add_f32 v6, v101, v16 :: v_dual_sub_f32 v7, v116, v117
	v_add_f32_e32 v3, v6, v17
	v_dual_add_f32 v6, v118, v119 :: v_dual_fmac_f32 v13, v8, v36
	s_delay_alu instid0(VALU_DEP_3)
	v_dual_fmamk_f32 v5, v7, 0x3f5db3d7, v1 :: v_dual_add_f32 v8, v102, v118
	v_mul_f32_e32 v11, v11, v108
	v_fmac_f32_e32 v1, 0xbf5db3d7, v7
	v_add_f32_e32 v7, v12, v14
	v_fma_f32 v102, -0.5, v6, v102
	v_dual_fmac_f32 v15, v10, v108 :: v_dual_add_f32 v6, v8, v119
	v_fma_f32 v28, v10, v109, -v11
	s_delay_alu instid0(VALU_DEP_4) | instskip(NEXT) | instid1(VALU_DEP_4)
	v_dual_add_f32 v10, v103, v12 :: v_dual_fmac_f32 v103, -0.5, v7
	v_dual_sub_f32 v11, v118, v119 :: v_dual_fmamk_f32 v8, v9, 0xbf5db3d7, v102
	s_delay_alu instid0(VALU_DEP_2) | instskip(NEXT) | instid1(VALU_DEP_2)
	v_dual_fmac_f32 v102, 0x3f5db3d7, v9 :: v_dual_add_f32 v7, v10, v14
	v_dual_add_f32 v10, v13, v15 :: v_dual_fmamk_f32 v9, v11, 0x3f5db3d7, v103
	v_fmac_f32_e32 v103, 0xbf5db3d7, v11
	v_dual_add_f32 v11, v18, v28 :: v_dual_add_f32 v12, v104, v13
	s_delay_alu instid0(VALU_DEP_3) | instskip(SKIP_1) | instid1(VALU_DEP_3)
	v_fma_f32 v10, -0.5, v10, v104
	v_dual_sub_f32 v16, v18, v28 :: v_dual_add_f32 v17, v105, v18
	v_fma_f32 v11, -0.5, v11, v105
	v_sub_f32_e32 v18, v13, v15
	v_add_f32_e32 v12, v12, v15
	s_delay_alu instid0(VALU_DEP_4)
	v_fmamk_f32 v14, v16, 0xbf5db3d7, v10
	v_fmac_f32_e32 v10, 0x3f5db3d7, v16
	v_dual_add_f32 v13, v17, v28 :: v_dual_add_f32 v16, v19, v29
	v_fmamk_f32 v15, v18, 0x3f5db3d7, v11
	v_add_f32_e32 v17, v106, v19
	v_dual_fmac_f32 v11, 0xbf5db3d7, v18 :: v_dual_add_f32 v18, v30, v32
	s_delay_alu instid0(VALU_DEP_4) | instskip(SKIP_1) | instid1(VALU_DEP_4)
	v_fma_f32 v106, -0.5, v16, v106
	v_sub_f32_e32 v28, v30, v32
	v_dual_add_f32 v16, v17, v29 :: v_dual_add_f32 v17, v107, v30
	s_delay_alu instid0(VALU_DEP_4) | instskip(NEXT) | instid1(VALU_DEP_3)
	v_fmac_f32_e32 v107, -0.5, v18
	v_dual_sub_f32 v29, v19, v29 :: v_dual_fmamk_f32 v18, v28, 0xbf5db3d7, v106
	v_fmac_f32_e32 v106, 0x3f5db3d7, v28
	s_delay_alu instid0(VALU_DEP_4) | instskip(NEXT) | instid1(VALU_DEP_3)
	v_dual_add_f32 v28, v31, v33 :: v_dual_add_f32 v17, v17, v32
	v_fmamk_f32 v19, v29, 0x3f5db3d7, v107
	v_fmac_f32_e32 v107, 0xbf5db3d7, v29
	v_add_f32_e32 v29, v34, v35
	v_add_f32_e32 v30, v26, v31
	v_fma_f32 v26, -0.5, v28, v26
	v_sub_f32_e32 v32, v34, v35
	s_delay_alu instid0(VALU_DEP_4) | instskip(SKIP_2) | instid1(VALU_DEP_4)
	v_dual_add_f32 v34, v27, v34 :: v_dual_fmac_f32 v27, -0.5, v29
	v_sub_f32_e32 v36, v31, v33
	v_add_f32_e32 v28, v30, v33
	v_fmamk_f32 v30, v32, 0xbf5db3d7, v26
	s_delay_alu instid0(VALU_DEP_4) | instskip(NEXT) | instid1(VALU_DEP_4)
	v_dual_fmac_f32 v26, 0x3f5db3d7, v32 :: v_dual_add_f32 v29, v34, v35
	v_fmamk_f32 v31, v36, 0x3f5db3d7, v27
	v_fmac_f32_e32 v27, 0xbf5db3d7, v36
	ds_store_2addr_b64 v167, v[2:3], v[4:5] offset1:13
	ds_store_b64 v167, v[0:1] offset:208
	ds_store_2addr_b64 v165, v[6:7], v[8:9] offset1:13
	ds_store_b64 v165, v[102:103] offset:208
	;; [unrolled: 2-line block ×5, first 2 shown]
	global_wb scope:SCOPE_SE
	s_wait_dscnt 0x0
	s_barrier_signal -1
	s_barrier_wait -1
	global_inv scope:SCOPE_SE
	ds_load_2addr_b64 v[0:3], v23 offset0:84 offset1:201
	ds_load_2addr_b64 v[4:7], v20 offset0:18 offset1:135
	;; [unrolled: 1-line block ×3, first 2 shown]
	ds_load_2addr_b64 v[12:15], v161 offset1:117
	ds_load_2addr_b64 v[16:19], v25 offset0:106 offset1:223
	ds_load_2addr_b64 v[26:29], v24 offset0:124 offset1:241
	;; [unrolled: 1-line block ×3, first 2 shown]
	ds_load_b64 v[34:35], v161 offset:13104
	global_wb scope:SCOPE_SE
	s_wait_dscnt 0x0
	s_barrier_signal -1
	s_barrier_wait -1
	global_inv scope:SCOPE_SE
	v_mul_f32_e32 v36, v57, v3
	v_dual_mul_f32 v37, v57, v2 :: v_dual_mul_f32 v38, v59, v5
	s_delay_alu instid0(VALU_DEP_2) | instskip(SKIP_1) | instid1(VALU_DEP_3)
	v_fmac_f32_e32 v36, v56, v2
	v_mul_f32_e32 v2, v59, v4
	v_fma_f32 v3, v56, v3, -v37
	s_delay_alu instid0(VALU_DEP_4) | instskip(SKIP_1) | instid1(VALU_DEP_4)
	v_dual_mul_f32 v37, v53, v9 :: v_dual_fmac_f32 v38, v58, v4
	v_mul_f32_e32 v4, v53, v8
	v_fma_f32 v5, v58, v5, -v2
	s_delay_alu instid0(VALU_DEP_3) | instskip(SKIP_1) | instid1(VALU_DEP_4)
	v_dual_mul_f32 v2, v55, v6 :: v_dual_fmac_f32 v37, v52, v8
	v_mul_f32_e32 v53, v51, v27
	v_fma_f32 v9, v52, v9, -v4
	v_mul_f32_e32 v52, v49, v11
	v_mul_f32_e32 v4, v49, v10
	v_fma_f32 v49, v54, v7, -v2
	v_dual_mul_f32 v2, v51, v26 :: v_dual_mul_f32 v51, v45, v31
	s_delay_alu instid0(VALU_DEP_4) | instskip(NEXT) | instid1(VALU_DEP_4)
	v_fmac_f32_e32 v52, v48, v10
	v_fma_f32 v48, v48, v11, -v4
	v_mul_f32_e32 v4, v45, v30
	v_add_f32_e32 v10, v13, v3
	v_mul_f32_e32 v39, v55, v7
	v_fma_f32 v27, v50, v27, -v2
	v_mul_f32_e32 v2, v47, v28
	v_add_f32_e32 v7, v3, v5
	v_sub_f32_e32 v8, v3, v5
	v_add_f32_e32 v5, v10, v5
	v_add_f32_e32 v10, v14, v37
	v_fmac_f32_e32 v39, v54, v6
	v_fmac_f32_e32 v51, v44, v30
	v_fma_f32 v30, v44, v31, -v4
	v_mul_f32_e32 v44, v41, v33
	v_dual_mul_f32 v4, v41, v32 :: v_dual_mul_f32 v45, v47, v29
	v_fma_f32 v29, v46, v29, -v2
	v_mul_f32_e32 v2, v43, v34
	s_delay_alu instid0(VALU_DEP_4) | instskip(NEXT) | instid1(VALU_DEP_4)
	v_fmac_f32_e32 v44, v40, v32
	v_fma_f32 v32, v40, v33, -v4
	v_add_f32_e32 v4, v36, v38
	v_add_f32_e32 v6, v12, v36
	v_fma_f32 v33, v42, v35, -v2
	v_add_f32_e32 v31, v17, v48
	s_delay_alu instid0(VALU_DEP_4) | instskip(NEXT) | instid1(VALU_DEP_4)
	v_fma_f32 v2, -0.5, v4, v12
	v_add_f32_e32 v4, v6, v38
	v_sub_f32_e32 v12, v9, v49
	s_delay_alu instid0(VALU_DEP_3) | instskip(SKIP_2) | instid1(VALU_DEP_1)
	v_fmamk_f32 v6, v8, 0xbf5db3d7, v2
	v_fmac_f32_e32 v2, 0x3f5db3d7, v8
	v_add_f32_e32 v8, v37, v39
	v_fma_f32 v14, -0.5, v8, v14
	v_add_f32_e32 v8, v10, v39
	s_delay_alu instid0(VALU_DEP_2) | instskip(SKIP_3) | instid1(VALU_DEP_4)
	v_dual_fmamk_f32 v10, v12, 0xbf5db3d7, v14 :: v_dual_fmac_f32 v53, v50, v26
	v_add_f32_e32 v26, v16, v52
	v_fmac_f32_e32 v45, v46, v28
	v_dual_mul_f32 v41, v43, v35 :: v_dual_fmac_f32 v14, 0x3f5db3d7, v12
	v_add_f32_e32 v12, v52, v53
	v_dual_sub_f32 v28, v48, v27 :: v_dual_sub_f32 v35, v30, v29
	s_delay_alu instid0(VALU_DEP_2)
	v_fma_f32 v12, -0.5, v12, v16
	v_add_f32_e32 v16, v26, v53
	v_fmac_f32_e32 v41, v42, v34
	v_sub_f32_e32 v11, v36, v38
	v_sub_f32_e32 v34, v52, v53
	v_fmamk_f32 v26, v28, 0xbf5db3d7, v12
	v_fmac_f32_e32 v12, 0x3f5db3d7, v28
	v_fma_f32 v3, -0.5, v7, v13
	v_dual_sub_f32 v13, v37, v39 :: v_dual_add_f32 v28, v51, v45
	v_add_f32_e32 v36, v0, v44
	v_add_f32_e32 v37, v1, v32
	s_delay_alu instid0(VALU_DEP_4) | instskip(SKIP_3) | instid1(VALU_DEP_2)
	v_fmamk_f32 v7, v11, 0x3f5db3d7, v3
	v_fmac_f32_e32 v3, 0xbf5db3d7, v11
	v_add_f32_e32 v11, v9, v49
	v_add_f32_e32 v9, v15, v9
	v_dual_sub_f32 v38, v44, v41 :: v_dual_fmac_f32 v15, -0.5, v11
	s_delay_alu instid0(VALU_DEP_1) | instskip(SKIP_2) | instid1(VALU_DEP_1)
	v_fmamk_f32 v11, v13, 0x3f5db3d7, v15
	v_fmac_f32_e32 v15, 0xbf5db3d7, v13
	v_add_f32_e32 v13, v48, v27
	v_fma_f32 v13, -0.5, v13, v17
	v_add_f32_e32 v17, v31, v27
	v_add_f32_e32 v31, v18, v51
	v_fma_f32 v18, -0.5, v28, v18
	s_delay_alu instid0(VALU_DEP_4) | instskip(SKIP_1) | instid1(VALU_DEP_4)
	v_fmamk_f32 v27, v34, 0x3f5db3d7, v13
	v_dual_fmac_f32 v13, 0xbf5db3d7, v34 :: v_dual_add_f32 v34, v30, v29
	v_add_f32_e32 v28, v31, v45
	v_add_f32_e32 v31, v19, v30
	v_fmamk_f32 v30, v35, 0xbf5db3d7, v18
	s_delay_alu instid0(VALU_DEP_4) | instskip(SKIP_1) | instid1(VALU_DEP_4)
	v_dual_fmac_f32 v18, 0x3f5db3d7, v35 :: v_dual_fmac_f32 v19, -0.5, v34
	v_sub_f32_e32 v34, v51, v45
	v_add_f32_e32 v29, v31, v29
	v_add_f32_e32 v35, v44, v41
	s_delay_alu instid0(VALU_DEP_3) | instskip(SKIP_1) | instid1(VALU_DEP_3)
	v_fmamk_f32 v31, v34, 0x3f5db3d7, v19
	v_dual_fmac_f32 v19, 0xbf5db3d7, v34 :: v_dual_add_f32 v34, v32, v33
	v_fma_f32 v0, -0.5, v35, v0
	v_sub_f32_e32 v35, v32, v33
	v_add_f32_e32 v9, v9, v49
	s_delay_alu instid0(VALU_DEP_4) | instskip(NEXT) | instid1(VALU_DEP_3)
	v_dual_add_f32 v32, v36, v41 :: v_dual_fmac_f32 v1, -0.5, v34
	v_dual_add_f32 v33, v37, v33 :: v_dual_fmamk_f32 v34, v35, 0xbf5db3d7, v0
	s_delay_alu instid0(VALU_DEP_2)
	v_dual_fmac_f32 v0, 0x3f5db3d7, v35 :: v_dual_fmamk_f32 v35, v38, 0x3f5db3d7, v1
	v_fmac_f32_e32 v1, 0xbf5db3d7, v38
	ds_store_2addr_b64 v176, v[4:5], v[6:7] offset1:39
	ds_store_b64 v176, v[2:3] offset:624
	ds_store_2addr_b64 v175, v[8:9], v[10:11] offset1:39
	ds_store_b64 v175, v[14:15] offset:624
	;; [unrolled: 2-line block ×5, first 2 shown]
	global_wb scope:SCOPE_SE
	s_wait_dscnt 0x0
	s_barrier_signal -1
	s_barrier_wait -1
	global_inv scope:SCOPE_SE
	ds_load_2addr_b64 v[0:3], v23 offset0:84 offset1:201
	ds_load_2addr_b64 v[4:7], v20 offset0:18 offset1:135
	;; [unrolled: 1-line block ×3, first 2 shown]
	ds_load_2addr_b64 v[12:15], v161 offset1:117
	ds_load_2addr_b64 v[16:19], v25 offset0:106 offset1:223
	ds_load_2addr_b64 v[26:29], v24 offset0:124 offset1:241
	;; [unrolled: 1-line block ×3, first 2 shown]
	ds_load_b64 v[34:35], v161 offset:13104
	global_wb scope:SCOPE_SE
	s_wait_dscnt 0x0
	s_barrier_signal -1
	s_barrier_wait -1
	global_inv scope:SCOPE_SE
	v_mul_f32_e32 v36, v73, v3
	v_mul_f32_e32 v38, v75, v5
	;; [unrolled: 1-line block ×4, first 2 shown]
	s_delay_alu instid0(VALU_DEP_4) | instskip(SKIP_4) | instid1(VALU_DEP_4)
	v_fmac_f32_e32 v36, v72, v2
	v_mul_f32_e32 v46, v61, v33
	v_dual_mul_f32 v37, v73, v2 :: v_dual_mul_f32 v2, v75, v4
	v_fmac_f32_e32 v38, v74, v4
	v_mul_f32_e32 v4, v73, v8
	v_fmac_f32_e32 v46, v60, v32
	s_delay_alu instid0(VALU_DEP_4)
	v_fma_f32 v3, v72, v3, -v37
	v_fma_f32 v5, v74, v5, -v2
	v_mul_f32_e32 v2, v75, v6
	v_mul_f32_e32 v44, v65, v31
	v_mul_f32_e32 v37, v73, v9
	v_fma_f32 v9, v72, v9, -v4
	v_mul_f32_e32 v4, v69, v10
	v_fma_f32 v41, v74, v7, -v2
	v_fmac_f32_e32 v44, v64, v30
	v_mul_f32_e32 v2, v71, v26
	v_fmac_f32_e32 v39, v74, v6
	v_fma_f32 v43, v68, v11, -v4
	v_mul_f32_e32 v4, v65, v30
	v_mul_f32_e32 v42, v71, v27
	v_fma_f32 v27, v70, v27, -v2
	v_mul_f32_e32 v2, v67, v28
	v_fmac_f32_e32 v37, v72, v8
	v_fma_f32 v30, v64, v31, -v4
	v_dual_mul_f32 v4, v61, v32 :: v_dual_mul_f32 v45, v67, v29
	s_delay_alu instid0(VALU_DEP_4) | instskip(SKIP_2) | instid1(VALU_DEP_4)
	v_fma_f32 v29, v66, v29, -v2
	v_dual_mul_f32 v47, v63, v35 :: v_dual_add_f32 v6, v12, v36
	v_mul_f32_e32 v2, v63, v34
	v_fma_f32 v32, v60, v33, -v4
	v_dual_add_f32 v4, v36, v38 :: v_dual_add_f32 v7, v3, v5
	v_dual_fmac_f32 v40, v68, v10 :: v_dual_fmac_f32 v45, v66, v28
	v_dual_sub_f32 v8, v3, v5 :: v_dual_fmac_f32 v47, v62, v34
	v_add_f32_e32 v10, v13, v3
	v_fma_f32 v33, v62, v35, -v2
	v_fma_f32 v2, -0.5, v4, v12
	v_add_f32_e32 v4, v6, v38
	v_fma_f32 v3, -0.5, v7, v13
	v_sub_f32_e32 v11, v36, v38
	s_delay_alu instid0(VALU_DEP_4) | instskip(SKIP_1) | instid1(VALU_DEP_3)
	v_dual_add_f32 v5, v10, v5 :: v_dual_fmamk_f32 v6, v8, 0xbf5db3d7, v2
	v_fmac_f32_e32 v2, 0x3f5db3d7, v8
	v_dual_add_f32 v8, v37, v39 :: v_dual_fmamk_f32 v7, v11, 0x3f5db3d7, v3
	v_dual_add_f32 v10, v14, v37 :: v_dual_fmac_f32 v3, 0xbf5db3d7, v11
	v_dual_add_f32 v11, v9, v41 :: v_dual_fmac_f32 v42, v70, v26
	s_delay_alu instid0(VALU_DEP_3) | instskip(NEXT) | instid1(VALU_DEP_3)
	v_fma_f32 v14, -0.5, v8, v14
	v_add_f32_e32 v8, v10, v39
	v_sub_f32_e32 v12, v9, v41
	v_add_f32_e32 v9, v15, v9
	v_fmac_f32_e32 v15, -0.5, v11
	v_dual_sub_f32 v13, v37, v39 :: v_dual_add_f32 v26, v16, v40
	s_delay_alu instid0(VALU_DEP_4) | instskip(NEXT) | instid1(VALU_DEP_4)
	v_fmamk_f32 v10, v12, 0xbf5db3d7, v14
	v_dual_fmac_f32 v14, 0x3f5db3d7, v12 :: v_dual_add_f32 v9, v9, v41
	s_delay_alu instid0(VALU_DEP_3) | instskip(SKIP_2) | instid1(VALU_DEP_3)
	v_dual_add_f32 v12, v40, v42 :: v_dual_fmamk_f32 v11, v13, 0x3f5db3d7, v15
	v_dual_fmac_f32 v15, 0xbf5db3d7, v13 :: v_dual_sub_f32 v28, v43, v27
	v_add_f32_e32 v13, v43, v27
	v_fma_f32 v12, -0.5, v12, v16
	v_dual_add_f32 v16, v26, v42 :: v_dual_add_f32 v31, v17, v43
	v_sub_f32_e32 v34, v40, v42
	s_delay_alu instid0(VALU_DEP_4) | instskip(NEXT) | instid1(VALU_DEP_4)
	v_fma_f32 v13, -0.5, v13, v17
	v_fmamk_f32 v26, v28, 0xbf5db3d7, v12
	s_delay_alu instid0(VALU_DEP_4) | instskip(SKIP_1) | instid1(VALU_DEP_4)
	v_dual_fmac_f32 v12, 0x3f5db3d7, v28 :: v_dual_add_f32 v17, v31, v27
	v_dual_add_f32 v28, v44, v45 :: v_dual_add_f32 v31, v18, v44
	v_fmamk_f32 v27, v34, 0x3f5db3d7, v13
	v_dual_fmac_f32 v13, 0xbf5db3d7, v34 :: v_dual_add_f32 v34, v30, v29
	s_delay_alu instid0(VALU_DEP_3) | instskip(SKIP_4) | instid1(VALU_DEP_4)
	v_fma_f32 v18, -0.5, v28, v18
	v_dual_sub_f32 v35, v30, v29 :: v_dual_add_f32 v36, v0, v46
	v_add_f32_e32 v28, v31, v45
	v_add_f32_e32 v31, v19, v30
	v_dual_fmac_f32 v19, -0.5, v34 :: v_dual_sub_f32 v34, v44, v45
	v_fmamk_f32 v30, v35, 0xbf5db3d7, v18
	s_delay_alu instid0(VALU_DEP_3) | instskip(SKIP_1) | instid1(VALU_DEP_4)
	v_dual_fmac_f32 v18, 0x3f5db3d7, v35 :: v_dual_add_f32 v29, v31, v29
	v_add_f32_e32 v35, v46, v47
	v_fmamk_f32 v31, v34, 0x3f5db3d7, v19
	v_dual_fmac_f32 v19, 0xbf5db3d7, v34 :: v_dual_sub_f32 v38, v46, v47
	v_add_f32_e32 v34, v32, v33
	s_delay_alu instid0(VALU_DEP_4)
	v_fma_f32 v0, -0.5, v35, v0
	v_sub_f32_e32 v35, v32, v33
	v_dual_add_f32 v37, v1, v32 :: v_dual_add_f32 v32, v36, v47
	ds_store_2addr_b64 v161, v[4:5], v[6:7] offset1:117
	v_add_nc_u32_e32 v4, 0x1400, v170
	v_dual_fmac_f32 v1, -0.5, v34 :: v_dual_fmamk_f32 v34, v35, 0xbf5db3d7, v0
	v_add_nc_u32_e32 v5, 0x2000, v172
	v_dual_fmac_f32 v0, 0x3f5db3d7, v35 :: v_dual_add_f32 v33, v37, v33
	s_delay_alu instid0(VALU_DEP_3)
	v_fmamk_f32 v35, v38, 0x3f5db3d7, v1
	v_fmac_f32_e32 v1, 0xbf5db3d7, v38
	v_add_nc_u32_e32 v6, 0x2800, v171
	ds_store_2addr_b64 v25, v[2:3], v[8:9] offset0:106 offset1:223
	ds_store_2addr_b64 v23, v[10:11], v[14:15] offset0:84 offset1:201
	;; [unrolled: 1-line block ×5, first 2 shown]
	ds_store_b64 v170, v[12:13] offset:7488
	ds_store_b64 v172, v[18:19] offset:10296
	;; [unrolled: 1-line block ×3, first 2 shown]
	global_wb scope:SCOPE_SE
	s_wait_dscnt 0x0
	s_barrier_signal -1
	s_barrier_wait -1
	global_inv scope:SCOPE_SE
	ds_load_2addr_b64 v[0:3], v25 offset0:106 offset1:223
	ds_load_2addr_b64 v[4:7], v22 offset0:62 offset1:179
	;; [unrolled: 1-line block ×5, first 2 shown]
	ds_load_2addr_b64 v[26:29], v161 offset1:117
	ds_load_2addr_b64 v[30:33], v20 offset0:18 offset1:135
	ds_load_b64 v[34:35], v161 offset:13104
	s_wait_dscnt 0x7
	v_mul_f32_e32 v37, v93, v2
	v_mul_f32_e32 v36, v93, v3
	s_wait_dscnt 0x6
	v_mul_f32_e32 v38, v95, v5
	s_wait_dscnt 0x5
	v_dual_mul_f32 v39, v95, v4 :: v_dual_mul_f32 v40, v97, v11
	v_fma_f32 v37, v92, v3, -v37
	v_fmac_f32_e32 v36, v92, v2
	v_fmac_f32_e32 v38, v94, v4
	s_delay_alu instid0(VALU_DEP_4)
	v_fma_f32 v39, v94, v5, -v39
	s_wait_dscnt 0x4
	v_dual_mul_f32 v5, v99, v13 :: v_dual_fmac_f32 v40, v96, v10
	v_dual_mul_f32 v3, v99, v12 :: v_dual_mul_f32 v2, v97, v10
	s_wait_dscnt 0x3
	v_mul_f32_e32 v41, v81, v17
	v_mul_f32_e32 v4, v81, v16
	v_fmac_f32_e32 v5, v98, v12
	v_fma_f32 v12, v98, v13, -v3
	v_fma_f32 v42, v96, v11, -v2
	v_dual_mul_f32 v2, v83, v6 :: v_dual_fmac_f32 v41, v80, v16
	s_wait_dscnt 0x1
	v_mul_f32_e32 v44, v89, v31
	v_mul_f32_e32 v3, v89, v30
	v_fma_f32 v43, v80, v17, -v4
	v_mul_f32_e32 v4, v87, v8
	v_mul_f32_e32 v17, v83, v7
	v_dual_mul_f32 v45, v91, v15 :: v_dual_fmac_f32 v44, v88, v30
	v_fma_f32 v46, v82, v7, -v2
	v_fma_f32 v30, v88, v31, -v3
	v_dual_mul_f32 v2, v91, v14 :: v_dual_mul_f32 v31, v85, v19
	v_mul_f32_e32 v47, v87, v9
	s_wait_dscnt 0x0
	v_dual_fmac_f32 v17, v82, v6 :: v_dual_mul_f32 v52, v79, v35
	v_mul_f32_e32 v3, v85, v18
	v_fma_f32 v48, v90, v15, -v2
	v_dual_add_f32 v2, v38, v40 :: v_dual_fmac_f32 v31, v84, v18
	v_fma_f32 v50, v86, v9, -v4
	v_add_f32_e32 v4, v26, v36
	v_dual_fmac_f32 v47, v86, v8 :: v_dual_sub_f32 v6, v36, v38
	v_sub_f32_e32 v8, v5, v40
	v_fma_f32 v49, v84, v19, -v3
	v_dual_mul_f32 v3, v77, v32 :: v_dual_add_f32 v10, v36, v5
	v_fma_f32 v2, -0.5, v2, v26
	s_delay_alu instid0(VALU_DEP_4)
	v_add_f32_e32 v13, v6, v8
	v_sub_f32_e32 v9, v39, v42
	v_sub_f32_e32 v7, v37, v12
	v_fmac_f32_e32 v45, v90, v14
	v_dual_mul_f32 v51, v77, v33 :: v_dual_fmac_f32 v52, v78, v34
	v_fma_f32 v33, v76, v33, -v3
	s_delay_alu instid0(VALU_DEP_4)
	v_dual_add_f32 v3, v4, v38 :: v_dual_fmamk_f32 v4, v7, 0xbf737871, v2
	v_fma_f32 v6, -0.5, v10, v26
	v_add_f32_e32 v14, v27, v37
	v_sub_f32_e32 v16, v12, v42
	v_dual_add_f32 v19, v28, v41 :: v_dual_sub_f32 v26, v43, v48
	v_fmac_f32_e32 v4, 0xbf167918, v9
	v_fmac_f32_e32 v2, 0x3f737871, v7
	s_delay_alu instid0(VALU_DEP_2) | instskip(SKIP_1) | instid1(VALU_DEP_3)
	v_dual_fmac_f32 v4, 0x3e9e377a, v13 :: v_dual_mul_f32 v11, v79, v34
	v_dual_fmamk_f32 v10, v9, 0x3f737871, v6 :: v_dual_add_f32 v3, v3, v40
	v_dual_fmac_f32 v2, 0x3f167918, v9 :: v_dual_fmac_f32 v51, v76, v32
	s_delay_alu instid0(VALU_DEP_3) | instskip(SKIP_1) | instid1(VALU_DEP_4)
	v_fma_f32 v53, v78, v35, -v11
	v_dual_add_f32 v15, v39, v42 :: v_dual_fmac_f32 v6, 0xbf737871, v9
	v_dual_add_f32 v8, v3, v5 :: v_dual_sub_f32 v3, v38, v36
	v_dual_fmac_f32 v10, 0xbf167918, v7 :: v_dual_sub_f32 v11, v40, v5
	s_delay_alu instid0(VALU_DEP_3) | instskip(SKIP_2) | instid1(VALU_DEP_4)
	v_fmac_f32_e32 v6, 0x3f167918, v7
	v_dual_add_f32 v9, v14, v39 :: v_dual_fmac_f32 v2, 0x3e9e377a, v13
	v_add_f32_e32 v7, v37, v12
	v_add_f32_e32 v11, v3, v11
	v_fma_f32 v3, -0.5, v15, v27
	v_sub_f32_e32 v15, v36, v5
	v_add_f32_e32 v9, v9, v42
	v_sub_f32_e32 v14, v37, v39
	v_fmac_f32_e32 v6, 0x3e9e377a, v11
	v_fmac_f32_e32 v10, 0x3e9e377a, v11
	v_fmamk_f32 v5, v15, 0x3f737871, v3
	v_sub_f32_e32 v13, v38, v40
	v_add_f32_e32 v9, v9, v12
	v_dual_add_f32 v14, v14, v16 :: v_dual_fmac_f32 v3, 0xbf737871, v15
	v_sub_f32_e32 v16, v39, v37
	v_fma_f32 v7, -0.5, v7, v27
	v_sub_f32_e32 v12, v42, v12
	v_add_f32_e32 v18, v17, v44
	v_add_f32_e32 v32, v41, v45
	v_add_f32_e32 v34, v46, v30
	s_delay_alu instid0(VALU_DEP_4) | instskip(NEXT) | instid1(VALU_DEP_4)
	v_dual_sub_f32 v37, v50, v33 :: v_dual_add_f32 v16, v16, v12
	v_fma_f32 v12, -0.5, v18, v28
	v_sub_f32_e32 v18, v41, v17
	v_fmamk_f32 v11, v13, 0xbf737871, v7
	v_fmac_f32_e32 v5, 0x3f167918, v13
	v_fmac_f32_e32 v3, 0xbf167918, v13
	;; [unrolled: 1-line block ×3, first 2 shown]
	v_fma_f32 v28, -0.5, v32, v28
	v_fmac_f32_e32 v11, 0x3f167918, v15
	v_sub_f32_e32 v27, v45, v44
	v_fmac_f32_e32 v5, 0x3e9e377a, v14
	v_fmac_f32_e32 v3, 0x3e9e377a, v14
	v_dual_fmamk_f32 v14, v26, 0xbf737871, v12 :: v_dual_add_f32 v13, v19, v17
	v_fmac_f32_e32 v12, 0x3f737871, v26
	v_fmac_f32_e32 v7, 0xbf167918, v15
	v_add_f32_e32 v15, v18, v27
	v_dual_sub_f32 v19, v46, v30 :: v_dual_add_f32 v32, v29, v43
	v_add_f32_e32 v38, v31, v52
	v_dual_sub_f32 v39, v31, v52 :: v_dual_sub_f32 v40, v53, v33
	s_delay_alu instid0(VALU_DEP_3) | instskip(NEXT) | instid1(VALU_DEP_1)
	v_fmac_f32_e32 v14, 0xbf167918, v19
	v_fmac_f32_e32 v14, 0x3e9e377a, v15
	v_dual_fmamk_f32 v18, v19, 0x3f737871, v28 :: v_dual_add_f32 v13, v13, v44
	v_fmac_f32_e32 v28, 0xbf737871, v19
	v_fmac_f32_e32 v11, 0x3e9e377a, v16
	s_delay_alu instid0(VALU_DEP_3) | instskip(NEXT) | instid1(VALU_DEP_4)
	v_dual_sub_f32 v27, v44, v45 :: v_dual_fmac_f32 v18, 0xbf167918, v26
	v_dual_fmac_f32 v7, 0x3e9e377a, v16 :: v_dual_add_f32 v16, v13, v45
	v_dual_fmac_f32 v12, 0x3f167918, v19 :: v_dual_add_f32 v19, v32, v46
	v_sub_f32_e32 v32, v41, v45
	v_dual_sub_f32 v13, v17, v41 :: v_dual_fmac_f32 v28, 0x3f167918, v26
	s_delay_alu instid0(VALU_DEP_3) | instskip(SKIP_1) | instid1(VALU_DEP_3)
	v_fmac_f32_e32 v12, 0x3e9e377a, v15
	v_dual_add_f32 v26, v43, v48 :: v_dual_sub_f32 v41, v50, v49
	v_add_f32_e32 v27, v13, v27
	v_fma_f32 v13, -0.5, v34, v29
	v_dual_sub_f32 v35, v43, v46 :: v_dual_sub_f32 v34, v17, v44
	s_delay_alu instid0(VALU_DEP_3) | instskip(SKIP_3) | instid1(VALU_DEP_3)
	v_dual_fmac_f32 v29, -0.5, v26 :: v_dual_fmac_f32 v18, 0x3e9e377a, v27
	v_add_f32_e32 v19, v19, v30
	v_sub_f32_e32 v36, v48, v30
	v_dual_fmamk_f32 v15, v32, 0x3f737871, v13 :: v_dual_sub_f32 v26, v46, v43
	v_dual_fmac_f32 v28, 0x3e9e377a, v27 :: v_dual_add_f32 v17, v19, v48
	v_sub_f32_e32 v30, v30, v48
	s_delay_alu instid0(VALU_DEP_4)
	v_add_f32_e32 v27, v35, v36
	v_add_f32_e32 v35, v47, v51
	v_fmac_f32_e32 v15, 0x3f167918, v34
	v_fmamk_f32 v19, v34, 0xbf737871, v29
	v_add_f32_e32 v36, v26, v30
	v_add_f32_e32 v30, v0, v31
	v_fma_f32 v26, -0.5, v35, v0
	v_sub_f32_e32 v35, v49, v53
	v_fmac_f32_e32 v13, 0xbf737871, v32
	v_fmac_f32_e32 v15, 0x3e9e377a, v27
	v_fmac_f32_e32 v29, 0x3f737871, v34
	v_fma_f32 v0, -0.5, v38, v0
	s_delay_alu instid0(VALU_DEP_4) | instskip(SKIP_1) | instid1(VALU_DEP_2)
	v_dual_sub_f32 v38, v51, v52 :: v_dual_fmac_f32 v13, 0xbf167918, v34
	v_dual_sub_f32 v34, v52, v51 :: v_dual_fmac_f32 v19, 0x3f167918, v32
	v_fmac_f32_e32 v13, 0x3e9e377a, v27
	v_dual_add_f32 v27, v30, v47 :: v_dual_fmamk_f32 v30, v35, 0xbf737871, v26
	v_fmac_f32_e32 v26, 0x3f737871, v35
	v_dual_fmac_f32 v29, 0xbf167918, v32 :: v_dual_sub_f32 v32, v31, v47
	s_delay_alu instid0(VALU_DEP_3) | instskip(NEXT) | instid1(VALU_DEP_3)
	v_fmac_f32_e32 v30, 0xbf167918, v37
	v_dual_fmac_f32 v26, 0x3f167918, v37 :: v_dual_add_f32 v27, v27, v51
	s_delay_alu instid0(VALU_DEP_3) | instskip(NEXT) | instid1(VALU_DEP_4)
	v_dual_add_f32 v34, v32, v34 :: v_dual_fmac_f32 v19, 0x3e9e377a, v36
	v_dual_fmac_f32 v29, 0x3e9e377a, v36 :: v_dual_sub_f32 v36, v47, v31
	s_delay_alu instid0(VALU_DEP_2) | instskip(NEXT) | instid1(VALU_DEP_4)
	v_fmac_f32_e32 v30, 0x3e9e377a, v34
	v_fmac_f32_e32 v26, 0x3e9e377a, v34
	v_fmamk_f32 v34, v37, 0x3f737871, v0
	s_delay_alu instid0(VALU_DEP_4)
	v_add_f32_e32 v36, v36, v38
	v_add_f32_e32 v32, v27, v52
	v_fmac_f32_e32 v0, 0xbf737871, v37
	v_add_f32_e32 v37, v1, v49
	v_dual_add_f32 v27, v50, v33 :: v_dual_fmac_f32 v34, 0xbf167918, v35
	v_sub_f32_e32 v38, v47, v51
	s_delay_alu instid0(VALU_DEP_3) | instskip(NEXT) | instid1(VALU_DEP_3)
	v_dual_fmac_f32 v0, 0x3f167918, v35 :: v_dual_add_f32 v35, v37, v50
	v_dual_add_f32 v37, v49, v53 :: v_dual_fmac_f32 v34, 0x3e9e377a, v36
	s_delay_alu instid0(VALU_DEP_4) | instskip(NEXT) | instid1(VALU_DEP_2)
	v_fma_f32 v27, -0.5, v27, v1
	v_dual_fmac_f32 v0, 0x3e9e377a, v36 :: v_dual_fmac_f32 v1, -0.5, v37
	v_sub_f32_e32 v37, v49, v50
	s_delay_alu instid0(VALU_DEP_3)
	v_fmamk_f32 v31, v39, 0x3f737871, v27
	v_add_f32_e32 v36, v35, v33
	v_sub_f32_e32 v33, v33, v53
	v_fmac_f32_e32 v27, 0xbf737871, v39
	v_fmamk_f32 v35, v38, 0xbf737871, v1
	v_fmac_f32_e32 v1, 0x3f737871, v38
	v_fmac_f32_e32 v31, 0x3f167918, v38
	v_add_f32_e32 v37, v37, v40
	v_dual_fmac_f32 v27, 0xbf167918, v38 :: v_dual_add_f32 v38, v41, v33
	s_delay_alu instid0(VALU_DEP_4)
	v_fmac_f32_e32 v1, 0xbf167918, v39
	v_fmac_f32_e32 v35, 0x3f167918, v39
	v_add_f32_e32 v33, v36, v53
	v_fmac_f32_e32 v31, 0x3e9e377a, v37
	v_fmac_f32_e32 v27, 0x3e9e377a, v37
	;; [unrolled: 1-line block ×4, first 2 shown]
	ds_store_2addr_b64 v161, v[8:9], v[16:17] offset1:117
	ds_store_2addr_b64 v22, v[10:11], v[18:19] offset0:62 offset1:179
	ds_store_2addr_b64 v24, v[2:3], v[12:13] offset0:124 offset1:241
	ds_store_2addr_b64 v25, v[32:33], v[4:5] offset0:106 offset1:223
	ds_store_2addr_b64 v23, v[14:15], v[30:31] offset0:84 offset1:201
	ds_store_2addr_b64 v21, v[34:35], v[6:7] offset0:40 offset1:157
	ds_store_2addr_b64 v20, v[28:29], v[0:1] offset0:18 offset1:135
	ds_store_b64 v161, v[26:27] offset:13104
	global_wb scope:SCOPE_SE
	s_wait_dscnt 0x0
	s_barrier_signal -1
	s_barrier_wait -1
	global_inv scope:SCOPE_SE
	ds_load_2addr_b64 v[0:3], v161 offset1:135
	v_mad_co_u64_u32 v[25:26], null, s4, v162, 0
	ds_load_b64 v[44:45], v161 offset:12960
	s_wait_dscnt 0x1
	v_mul_f32_e32 v4, v156, v1
	v_dual_mul_f32 v5, v156, v0 :: v_dual_mul_f32 v8, v154, v2
	s_wait_dscnt 0x0
	v_mul_f32_e32 v54, v148, v45
	v_mul_f32_e32 v55, v148, v44
	v_fmac_f32_e32 v4, v155, v0
	v_fma_f32 v0, v155, v1, -v5
	s_delay_alu instid0(VALU_DEP_4) | instskip(NEXT) | instid1(VALU_DEP_4)
	v_dual_mul_f32 v1, v154, v3 :: v_dual_fmac_f32 v54, v147, v44
	v_fma_f32 v56, v147, v45, -v55
	s_delay_alu instid0(VALU_DEP_4) | instskip(NEXT) | instid1(VALU_DEP_4)
	v_cvt_f64_f32_e32 v[4:5], v4
	v_cvt_f64_f32_e32 v[6:7], v0
	s_delay_alu instid0(VALU_DEP_4) | instskip(SKIP_3) | instid1(VALU_DEP_4)
	v_fmac_f32_e32 v1, v153, v2
	v_fma_f32 v0, v153, v3, -v8
	v_cvt_f64_f32_e32 v[54:55], v54
	v_cvt_f64_f32_e32 v[56:57], v56
	;; [unrolled: 1-line block ×3, first 2 shown]
	s_delay_alu instid0(VALU_DEP_4)
	v_cvt_f64_f32_e32 v[10:11], v0
	v_add_nc_u32_e32 v0, 0x800, v161
	ds_load_2addr_b64 v[0:3], v0 offset0:14 offset1:149
	s_wait_alu 0xfffe
	v_mul_f64_e32 v[12:13], s[2:3], v[4:5]
	s_wait_dscnt 0x0
	v_mul_f32_e32 v4, v152, v1
	v_mul_f32_e32 v5, v152, v0
	v_mul_f64_e32 v[14:15], s[2:3], v[6:7]
	v_add_nc_u32_e32 v6, 0x1000, v161
	s_delay_alu instid0(VALU_DEP_4)
	v_fmac_f32_e32 v4, v151, v0
	v_mul_f64_e32 v[8:9], s[2:3], v[8:9]
	v_fma_f32 v5, v151, v1, -v5
	v_mul_f64_e32 v[0:1], s[2:3], v[10:11]
	v_mad_co_u64_u32 v[10:11], null, s6, v140, 0
	v_cvt_f64_f32_e32 v[16:17], v4
	s_delay_alu instid0(VALU_DEP_4) | instskip(NEXT) | instid1(VALU_DEP_3)
	v_cvt_f64_f32_e32 v[18:19], v5
	v_dual_mov_b32 v5, v26 :: v_dual_mov_b32 v4, v11
	s_delay_alu instid0(VALU_DEP_1)
	v_mad_co_u64_u32 v[26:27], null, s7, v140, v[4:5]
	v_mad_co_u64_u32 v[27:28], null, s5, v162, v[5:6]
	ds_load_2addr_b64 v[4:7], v6 offset0:28 offset1:163
	s_mul_u64 s[6:7], s[4:5], 0x87
	s_wait_alu 0xfffe
	s_lshl_b64 s[6:7], s[6:7], 3
	v_dual_mov_b32 v11, v26 :: v_dual_mov_b32 v26, v27
	s_delay_alu instid0(VALU_DEP_1)
	v_lshlrev_b64_e32 v[30:31], 3, v[10:11]
	v_add_nc_u32_e32 v10, 0x1800, v161
	v_cvt_f32_f64_e32 v28, v[12:13]
	v_mul_f32_e32 v12, v150, v3
	v_lshlrev_b64_e32 v[25:26], 3, v[25:26]
	v_cvt_f32_f64_e32 v29, v[14:15]
	s_delay_alu instid0(VALU_DEP_3)
	v_fmac_f32_e32 v12, v149, v2
	v_cvt_f32_f64_e32 v32, v[8:9]
	ds_load_2addr_b64 v[8:11], v10 offset0:42 offset1:177
	v_cvt_f32_f64_e32 v33, v[0:1]
	v_mul_f32_e32 v0, v150, v2
	v_cvt_f64_f32_e32 v[34:35], v12
	s_wait_dscnt 0x1
	v_mul_f32_e32 v2, v144, v4
	v_mul_f32_e32 v12, v135, v7
	v_mul_f64_e32 v[16:17], s[2:3], v[16:17]
	v_fma_f32 v0, v149, v3, -v0
	v_add_nc_u32_e32 v3, 0x2000, v161
	v_fma_f32 v13, v143, v5, -v2
	v_fmac_f32_e32 v12, v134, v6
	v_mul_f32_e32 v6, v135, v6
	v_mul_f64_e32 v[18:19], s[2:3], v[18:19]
	s_delay_alu instid0(VALU_DEP_4) | instskip(NEXT) | instid1(VALU_DEP_4)
	v_cvt_f64_f32_e32 v[38:39], v13
	v_cvt_f64_f32_e32 v[40:41], v12
	ds_load_2addr_b64 v[12:15], v24 offset0:70 offset1:205
	v_fma_f32 v6, v134, v7, -v6
	s_wait_dscnt 0x1
	v_mul_f32_e32 v24, v139, v9
	v_mul_f32_e32 v1, v144, v5
	v_dual_mul_f32 v27, v139, v8 :: v_dual_mul_f32 v42, v142, v11
	v_cvt_f64_f32_e32 v[6:7], v6
	s_delay_alu instid0(VALU_DEP_4) | instskip(NEXT) | instid1(VALU_DEP_4)
	v_fmac_f32_e32 v24, v138, v8
	v_fmac_f32_e32 v1, v143, v4
	v_cvt_f64_f32_e32 v[4:5], v0
	v_fmac_f32_e32 v42, v141, v10
	s_delay_alu instid0(VALU_DEP_3)
	v_cvt_f64_f32_e32 v[36:37], v1
	ds_load_2addr_b64 v[0:3], v3 offset0:56 offset1:191
	s_wait_dscnt 0x1
	v_dual_mul_f32 v43, v142, v10 :: v_dual_mul_f32 v52, v133, v13
	v_fma_f32 v27, v138, v9, -v27
	v_cvt_f64_f32_e32 v[8:9], v24
	s_delay_alu instid0(VALU_DEP_3) | instskip(SKIP_2) | instid1(VALU_DEP_3)
	v_fmac_f32_e32 v52, v132, v12
	v_mul_f32_e32 v12, v133, v12
	v_cvt_f32_f64_e32 v16, v[16:17]
	v_cvt_f64_f32_e32 v[52:53], v52
	v_cvt_f32_f64_e32 v17, v[18:19]
	s_wait_dscnt 0x0
	v_mul_f32_e32 v24, v131, v1
	v_fma_f32 v46, v141, v11, -v43
	v_cvt_f64_f32_e32 v[10:11], v27
	v_dual_mul_f32 v48, v137, v3 :: v_dual_mul_f32 v27, v131, v0
	s_delay_alu instid0(VALU_DEP_4) | instskip(SKIP_1) | instid1(VALU_DEP_3)
	v_dual_mul_f32 v49, v137, v2 :: v_dual_fmac_f32 v24, v130, v0
	v_cvt_f64_f32_e32 v[42:43], v42
	v_fmac_f32_e32 v48, v136, v2
	s_delay_alu instid0(VALU_DEP_4) | instskip(NEXT) | instid1(VALU_DEP_4)
	v_fma_f32 v27, v130, v1, -v27
	v_fma_f32 v50, v136, v3, -v49
	v_cvt_f64_f32_e32 v[0:1], v24
	v_mul_f32_e32 v24, v146, v15
	v_cvt_f64_f32_e32 v[46:47], v46
	v_cvt_f64_f32_e32 v[2:3], v27
	v_mul_f32_e32 v27, v146, v14
	v_fma_f32 v12, v132, v13, -v12
	v_fmac_f32_e32 v24, v145, v14
	v_cvt_f64_f32_e32 v[48:49], v48
	v_cvt_f64_f32_e32 v[50:51], v50
	v_fma_f32 v27, v145, v15, -v27
	v_cvt_f64_f32_e32 v[12:13], v12
	v_cvt_f64_f32_e32 v[14:15], v24
	v_add_co_u32 v24, s0, s10, v30
	s_delay_alu instid0(VALU_DEP_4)
	v_cvt_f64_f32_e32 v[44:45], v27
	s_wait_alu 0xf1ff
	v_add_co_ci_u32_e64 v27, s0, s11, v31, s0
	v_mul_f64_e32 v[30:31], s[2:3], v[34:35]
	v_mul_f64_e32 v[4:5], s[2:3], v[4:5]
	v_add_co_u32 v24, s0, v24, v25
	s_wait_alu 0xf1ff
	v_add_co_ci_u32_e64 v25, s0, v27, v26, s0
	v_mul_f64_e32 v[26:27], s[2:3], v[36:37]
	v_mul_f64_e32 v[34:35], s[2:3], v[38:39]
	v_mul_f64_e32 v[38:39], s[2:3], v[40:41]
	v_mul_f64_e32 v[6:7], s[2:3], v[6:7]
	v_mul_f64_e32 v[8:9], s[2:3], v[8:9]
	s_wait_alu 0xfffe
	v_add_co_u32 v36, s0, v24, s6
	v_mul_f64_e32 v[10:11], s[2:3], v[10:11]
	s_wait_alu 0xf1ff
	v_add_co_ci_u32_e64 v37, s0, s7, v25, s0
	s_clause 0x1
	global_store_b64 v[24:25], v[28:29], off
	global_store_b64 v[36:37], v[32:33], off
	v_mul_f64_e32 v[24:25], s[2:3], v[42:43]
	v_mul_f64_e32 v[42:43], s[2:3], v[52:53]
	;; [unrolled: 1-line block ×3, first 2 shown]
	v_add_co_u32 v18, s0, v36, s6
	v_mul_f64_e32 v[28:29], s[2:3], v[46:47]
	v_mul_f64_e32 v[2:3], s[2:3], v[2:3]
	;; [unrolled: 1-line block ×3, first 2 shown]
	s_wait_alu 0xf1ff
	v_add_co_ci_u32_e64 v19, s0, s7, v37, s0
	v_mul_f64_e32 v[32:33], s[2:3], v[48:49]
	v_mul_f64_e32 v[40:41], s[2:3], v[50:51]
	;; [unrolled: 1-line block ×5, first 2 shown]
	global_store_b64 v[18:19], v[16:17], off
	v_mul_f64_e32 v[44:45], s[2:3], v[44:45]
	v_cvt_f32_f64_e32 v30, v[30:31]
	v_cvt_f32_f64_e32 v31, v[4:5]
	v_add_co_u32 v4, s0, v18, s6
	s_wait_alu 0xf1ff
	v_add_co_ci_u32_e64 v5, s0, s7, v19, s0
	v_cvt_f32_f64_e32 v26, v[26:27]
	v_cvt_f32_f64_e32 v27, v[34:35]
	;; [unrolled: 1-line block ×5, first 2 shown]
	v_add_co_u32 v34, s0, v4, s6
	v_cvt_f32_f64_e32 v7, v[10:11]
	s_wait_alu 0xf1ff
	v_add_co_ci_u32_e64 v35, s0, s7, v5, s0
	s_delay_alu instid0(VALU_DEP_3) | instskip(SKIP_1) | instid1(VALU_DEP_2)
	v_add_co_u32 v8, s0, v34, s6
	s_wait_alu 0xf1ff
	v_add_co_ci_u32_e64 v9, s0, s7, v35, s0
	v_cvt_f32_f64_e32 v10, v[24:25]
	v_cvt_f32_f64_e32 v24, v[0:1]
	v_add_co_u32 v0, s0, v8, s6
	v_cvt_f32_f64_e32 v11, v[28:29]
	v_cvt_f32_f64_e32 v25, v[2:3]
	;; [unrolled: 1-line block ×3, first 2 shown]
	s_wait_alu 0xf1ff
	v_add_co_ci_u32_e64 v1, s0, s7, v9, s0
	v_cvt_f32_f64_e32 v2, v[32:33]
	v_cvt_f32_f64_e32 v3, v[40:41]
	;; [unrolled: 1-line block ×7, first 2 shown]
	v_add_co_u32 v16, s0, v0, s6
	s_wait_alu 0xf1ff
	v_add_co_ci_u32_e64 v17, s0, s7, v1, s0
	global_store_b64 v[4:5], v[30:31], off
	v_add_co_u32 v4, s0, v16, s6
	s_wait_alu 0xf1ff
	v_add_co_ci_u32_e64 v5, s0, s7, v17, s0
	global_store_b64 v[34:35], v[26:27], off
	;; [unrolled: 4-line block ×4, first 2 shown]
	v_add_co_u32 v6, s0, v8, s6
	s_wait_alu 0xf1ff
	v_add_co_ci_u32_e64 v7, s0, s7, v9, s0
	s_delay_alu instid0(VALU_DEP_2) | instskip(SKIP_1) | instid1(VALU_DEP_2)
	v_add_co_u32 v0, s0, v6, s6
	s_wait_alu 0xf1ff
	v_add_co_ci_u32_e64 v1, s0, s7, v7, s0
	global_store_b64 v[16:17], v[10:11], off
	global_store_b64 v[4:5], v[24:25], off
	;; [unrolled: 1-line block ×6, first 2 shown]
	s_and_b32 exec_lo, exec_lo, vcc_lo
	s_cbranch_execz .LBB0_15
; %bb.14:
	global_load_b64 v[6:7], v[128:129], off offset:936
	ds_load_2addr_b64 v[2:5], v161 offset0:117 offset1:252
	v_mad_co_u64_u32 v[0:1], null, 0xffffd108, s4, v[0:1]
	s_mul_i32 s0, s5, 0xffffd108
	s_wait_alu 0xfffe
	s_sub_co_i32 s0, s0, s4
	s_wait_loadcnt_dscnt 0x0
	s_wait_alu 0xfffe
	s_delay_alu instid0(VALU_DEP_1) | instskip(SKIP_1) | instid1(VALU_DEP_2)
	v_dual_mul_f32 v8, v3, v7 :: v_dual_add_nc_u32 v1, s0, v1
	v_mul_f32_e32 v7, v2, v7
	v_fmac_f32_e32 v8, v2, v6
	s_delay_alu instid0(VALU_DEP_2) | instskip(NEXT) | instid1(VALU_DEP_2)
	v_fma_f32 v6, v6, v3, -v7
	v_cvt_f64_f32_e32 v[2:3], v8
	s_delay_alu instid0(VALU_DEP_2) | instskip(NEXT) | instid1(VALU_DEP_2)
	v_cvt_f64_f32_e32 v[6:7], v6
	v_mul_f64_e32 v[2:3], s[2:3], v[2:3]
	s_delay_alu instid0(VALU_DEP_2) | instskip(NEXT) | instid1(VALU_DEP_2)
	v_mul_f64_e32 v[6:7], s[2:3], v[6:7]
	v_cvt_f32_f64_e32 v2, v[2:3]
	s_delay_alu instid0(VALU_DEP_2)
	v_cvt_f32_f64_e32 v3, v[6:7]
	global_store_b64 v[0:1], v[2:3], off
	global_load_b64 v[2:3], v[128:129], off offset:2016
	s_wait_loadcnt 0x0
	v_mul_f32_e32 v6, v5, v3
	v_mul_f32_e32 v3, v4, v3
	s_delay_alu instid0(VALU_DEP_2) | instskip(NEXT) | instid1(VALU_DEP_2)
	v_fmac_f32_e32 v6, v4, v2
	v_fma_f32 v4, v2, v5, -v3
	s_delay_alu instid0(VALU_DEP_2) | instskip(NEXT) | instid1(VALU_DEP_2)
	v_cvt_f64_f32_e32 v[2:3], v6
	v_cvt_f64_f32_e32 v[4:5], v4
	s_delay_alu instid0(VALU_DEP_2) | instskip(NEXT) | instid1(VALU_DEP_2)
	v_mul_f64_e32 v[2:3], s[2:3], v[2:3]
	v_mul_f64_e32 v[4:5], s[2:3], v[4:5]
	s_delay_alu instid0(VALU_DEP_2) | instskip(NEXT) | instid1(VALU_DEP_2)
	v_cvt_f32_f64_e32 v2, v[2:3]
	v_cvt_f32_f64_e32 v3, v[4:5]
	v_add_co_u32 v4, vcc_lo, v0, s6
	s_wait_alu 0xfffd
	v_add_co_ci_u32_e32 v5, vcc_lo, s7, v1, vcc_lo
	global_store_b64 v[4:5], v[2:3], off
	global_load_b64 v[6:7], v[128:129], off offset:3096
	ds_load_2addr_b64 v[0:3], v23 offset0:3 offset1:138
	v_add_co_u32 v4, vcc_lo, v4, s6
	s_wait_alu 0xfffd
	v_add_co_ci_u32_e32 v5, vcc_lo, s7, v5, vcc_lo
	s_wait_loadcnt_dscnt 0x0
	v_mul_f32_e32 v8, v1, v7
	v_mul_f32_e32 v7, v0, v7
	s_delay_alu instid0(VALU_DEP_2) | instskip(NEXT) | instid1(VALU_DEP_2)
	v_fmac_f32_e32 v8, v0, v6
	v_fma_f32 v6, v6, v1, -v7
	s_delay_alu instid0(VALU_DEP_2) | instskip(NEXT) | instid1(VALU_DEP_2)
	v_cvt_f64_f32_e32 v[0:1], v8
	v_cvt_f64_f32_e32 v[6:7], v6
	s_delay_alu instid0(VALU_DEP_2) | instskip(NEXT) | instid1(VALU_DEP_2)
	v_mul_f64_e32 v[0:1], s[2:3], v[0:1]
	v_mul_f64_e32 v[6:7], s[2:3], v[6:7]
	s_delay_alu instid0(VALU_DEP_2) | instskip(NEXT) | instid1(VALU_DEP_2)
	v_cvt_f32_f64_e32 v0, v[0:1]
	v_cvt_f32_f64_e32 v1, v[6:7]
	global_store_b64 v[4:5], v[0:1], off
	global_load_b64 v[0:1], v[128:129], off offset:4176
	v_add_co_u32 v4, vcc_lo, v4, s6
	s_wait_alu 0xfffd
	v_add_co_ci_u32_e32 v5, vcc_lo, s7, v5, vcc_lo
	s_wait_loadcnt 0x0
	v_mul_f32_e32 v6, v3, v1
	v_mul_f32_e32 v1, v2, v1
	s_delay_alu instid0(VALU_DEP_2) | instskip(NEXT) | instid1(VALU_DEP_2)
	v_fmac_f32_e32 v6, v2, v0
	v_fma_f32 v2, v0, v3, -v1
	s_delay_alu instid0(VALU_DEP_2) | instskip(NEXT) | instid1(VALU_DEP_2)
	v_cvt_f64_f32_e32 v[0:1], v6
	v_cvt_f64_f32_e32 v[2:3], v2
	s_delay_alu instid0(VALU_DEP_2) | instskip(NEXT) | instid1(VALU_DEP_2)
	v_mul_f64_e32 v[0:1], s[2:3], v[0:1]
	v_mul_f64_e32 v[2:3], s[2:3], v[2:3]
	s_delay_alu instid0(VALU_DEP_2) | instskip(NEXT) | instid1(VALU_DEP_2)
	v_cvt_f32_f64_e32 v0, v[0:1]
	v_cvt_f32_f64_e32 v1, v[2:3]
	global_store_b64 v[4:5], v[0:1], off
	global_load_b64 v[6:7], v[128:129], off offset:5256
	ds_load_2addr_b64 v[0:3], v22 offset0:17 offset1:152
	v_add_co_u32 v4, vcc_lo, v4, s6
	s_wait_alu 0xfffd
	v_add_co_ci_u32_e32 v5, vcc_lo, s7, v5, vcc_lo
	s_wait_loadcnt_dscnt 0x0
	v_mul_f32_e32 v8, v1, v7
	v_mul_f32_e32 v7, v0, v7
	s_delay_alu instid0(VALU_DEP_2) | instskip(NEXT) | instid1(VALU_DEP_2)
	v_fmac_f32_e32 v8, v0, v6
	v_fma_f32 v6, v6, v1, -v7
	s_delay_alu instid0(VALU_DEP_2) | instskip(NEXT) | instid1(VALU_DEP_2)
	v_cvt_f64_f32_e32 v[0:1], v8
	v_cvt_f64_f32_e32 v[6:7], v6
	s_delay_alu instid0(VALU_DEP_2) | instskip(NEXT) | instid1(VALU_DEP_2)
	v_mul_f64_e32 v[0:1], s[2:3], v[0:1]
	v_mul_f64_e32 v[6:7], s[2:3], v[6:7]
	s_delay_alu instid0(VALU_DEP_2) | instskip(NEXT) | instid1(VALU_DEP_2)
	v_cvt_f32_f64_e32 v0, v[0:1]
	v_cvt_f32_f64_e32 v1, v[6:7]
	global_store_b64 v[4:5], v[0:1], off
	global_load_b64 v[0:1], v[128:129], off offset:6336
	v_add_co_u32 v4, vcc_lo, v4, s6
	s_wait_alu 0xfffd
	v_add_co_ci_u32_e32 v5, vcc_lo, s7, v5, vcc_lo
	s_wait_loadcnt 0x0
	v_mul_f32_e32 v6, v3, v1
	v_mul_f32_e32 v1, v2, v1
	s_delay_alu instid0(VALU_DEP_2) | instskip(NEXT) | instid1(VALU_DEP_2)
	v_fmac_f32_e32 v6, v2, v0
	v_fma_f32 v2, v0, v3, -v1
	s_delay_alu instid0(VALU_DEP_2) | instskip(NEXT) | instid1(VALU_DEP_2)
	v_cvt_f64_f32_e32 v[0:1], v6
	v_cvt_f64_f32_e32 v[2:3], v2
	s_delay_alu instid0(VALU_DEP_2) | instskip(NEXT) | instid1(VALU_DEP_2)
	v_mul_f64_e32 v[0:1], s[2:3], v[0:1]
	v_mul_f64_e32 v[2:3], s[2:3], v[2:3]
	s_delay_alu instid0(VALU_DEP_2) | instskip(NEXT) | instid1(VALU_DEP_2)
	v_cvt_f32_f64_e32 v0, v[0:1]
	v_cvt_f32_f64_e32 v1, v[2:3]
	;; [unrolled: 41-line block ×4, first 2 shown]
	global_store_b64 v[4:5], v[0:1], off
	global_load_b64 v[6:7], v[128:129], off offset:11736
	v_add_nc_u32_e32 v0, 0x2c00, v161
	v_add_co_u32 v4, vcc_lo, v4, s6
	s_wait_alu 0xfffd
	v_add_co_ci_u32_e32 v5, vcc_lo, s7, v5, vcc_lo
	ds_load_2addr_b64 v[0:3], v0 offset0:59 offset1:194
	s_wait_loadcnt_dscnt 0x0
	v_mul_f32_e32 v8, v1, v7
	v_mul_f32_e32 v7, v0, v7
	s_delay_alu instid0(VALU_DEP_2) | instskip(NEXT) | instid1(VALU_DEP_2)
	v_fmac_f32_e32 v8, v0, v6
	v_fma_f32 v6, v6, v1, -v7
	s_delay_alu instid0(VALU_DEP_2) | instskip(NEXT) | instid1(VALU_DEP_2)
	v_cvt_f64_f32_e32 v[0:1], v8
	v_cvt_f64_f32_e32 v[6:7], v6
	s_delay_alu instid0(VALU_DEP_2) | instskip(NEXT) | instid1(VALU_DEP_2)
	v_mul_f64_e32 v[0:1], s[2:3], v[0:1]
	v_mul_f64_e32 v[6:7], s[2:3], v[6:7]
	s_delay_alu instid0(VALU_DEP_2) | instskip(NEXT) | instid1(VALU_DEP_2)
	v_cvt_f32_f64_e32 v0, v[0:1]
	v_cvt_f32_f64_e32 v1, v[6:7]
	global_store_b64 v[4:5], v[0:1], off
	global_load_b64 v[0:1], v[128:129], off offset:12816
	s_wait_loadcnt 0x0
	v_mul_f32_e32 v6, v3, v1
	v_mul_f32_e32 v1, v2, v1
	s_delay_alu instid0(VALU_DEP_2) | instskip(NEXT) | instid1(VALU_DEP_2)
	v_fmac_f32_e32 v6, v2, v0
	v_fma_f32 v2, v0, v3, -v1
	s_delay_alu instid0(VALU_DEP_2) | instskip(NEXT) | instid1(VALU_DEP_2)
	v_cvt_f64_f32_e32 v[0:1], v6
	v_cvt_f64_f32_e32 v[2:3], v2
	s_delay_alu instid0(VALU_DEP_2) | instskip(NEXT) | instid1(VALU_DEP_2)
	v_mul_f64_e32 v[0:1], s[2:3], v[0:1]
	v_mul_f64_e32 v[2:3], s[2:3], v[2:3]
	s_delay_alu instid0(VALU_DEP_2) | instskip(NEXT) | instid1(VALU_DEP_2)
	v_cvt_f32_f64_e32 v0, v[0:1]
	v_cvt_f32_f64_e32 v1, v[2:3]
	v_add_co_u32 v2, vcc_lo, v4, s6
	s_wait_alu 0xfffd
	v_add_co_ci_u32_e32 v3, vcc_lo, s7, v5, vcc_lo
	ds_load_b64 v[4:5], v161 offset:13896
	global_store_b64 v[2:3], v[0:1], off
	global_load_b64 v[0:1], v[128:129], off offset:13896
	v_add_co_u32 v2, vcc_lo, v2, s6
	s_wait_alu 0xfffd
	v_add_co_ci_u32_e32 v3, vcc_lo, s7, v3, vcc_lo
	s_wait_loadcnt_dscnt 0x0
	v_mul_f32_e32 v6, v5, v1
	v_mul_f32_e32 v1, v4, v1
	s_delay_alu instid0(VALU_DEP_2) | instskip(NEXT) | instid1(VALU_DEP_2)
	v_fmac_f32_e32 v6, v4, v0
	v_fma_f32 v4, v0, v5, -v1
	s_delay_alu instid0(VALU_DEP_2) | instskip(NEXT) | instid1(VALU_DEP_2)
	v_cvt_f64_f32_e32 v[0:1], v6
	v_cvt_f64_f32_e32 v[4:5], v4
	s_delay_alu instid0(VALU_DEP_2) | instskip(NEXT) | instid1(VALU_DEP_2)
	v_mul_f64_e32 v[0:1], s[2:3], v[0:1]
	v_mul_f64_e32 v[4:5], s[2:3], v[4:5]
	s_delay_alu instid0(VALU_DEP_2) | instskip(NEXT) | instid1(VALU_DEP_2)
	v_cvt_f32_f64_e32 v0, v[0:1]
	v_cvt_f32_f64_e32 v1, v[4:5]
	global_store_b64 v[2:3], v[0:1], off
.LBB0_15:
	s_nop 0
	s_sendmsg sendmsg(MSG_DEALLOC_VGPRS)
	s_endpgm
	.section	.rodata,"a",@progbits
	.p2align	6, 0x0
	.amdhsa_kernel bluestein_single_back_len1755_dim1_sp_op_CI_CI
		.amdhsa_group_segment_fixed_size 14040
		.amdhsa_private_segment_fixed_size 0
		.amdhsa_kernarg_size 104
		.amdhsa_user_sgpr_count 2
		.amdhsa_user_sgpr_dispatch_ptr 0
		.amdhsa_user_sgpr_queue_ptr 0
		.amdhsa_user_sgpr_kernarg_segment_ptr 1
		.amdhsa_user_sgpr_dispatch_id 0
		.amdhsa_user_sgpr_private_segment_size 0
		.amdhsa_wavefront_size32 1
		.amdhsa_uses_dynamic_stack 0
		.amdhsa_enable_private_segment 0
		.amdhsa_system_sgpr_workgroup_id_x 1
		.amdhsa_system_sgpr_workgroup_id_y 0
		.amdhsa_system_sgpr_workgroup_id_z 0
		.amdhsa_system_sgpr_workgroup_info 0
		.amdhsa_system_vgpr_workitem_id 0
		.amdhsa_next_free_vgpr 248
		.amdhsa_next_free_sgpr 16
		.amdhsa_reserve_vcc 1
		.amdhsa_float_round_mode_32 0
		.amdhsa_float_round_mode_16_64 0
		.amdhsa_float_denorm_mode_32 3
		.amdhsa_float_denorm_mode_16_64 3
		.amdhsa_fp16_overflow 0
		.amdhsa_workgroup_processor_mode 1
		.amdhsa_memory_ordered 1
		.amdhsa_forward_progress 0
		.amdhsa_round_robin_scheduling 0
		.amdhsa_exception_fp_ieee_invalid_op 0
		.amdhsa_exception_fp_denorm_src 0
		.amdhsa_exception_fp_ieee_div_zero 0
		.amdhsa_exception_fp_ieee_overflow 0
		.amdhsa_exception_fp_ieee_underflow 0
		.amdhsa_exception_fp_ieee_inexact 0
		.amdhsa_exception_int_div_zero 0
	.end_amdhsa_kernel
	.text
.Lfunc_end0:
	.size	bluestein_single_back_len1755_dim1_sp_op_CI_CI, .Lfunc_end0-bluestein_single_back_len1755_dim1_sp_op_CI_CI
                                        ; -- End function
	.section	.AMDGPU.csdata,"",@progbits
; Kernel info:
; codeLenInByte = 28700
; NumSgprs: 18
; NumVgprs: 248
; ScratchSize: 0
; MemoryBound: 0
; FloatMode: 240
; IeeeMode: 1
; LDSByteSize: 14040 bytes/workgroup (compile time only)
; SGPRBlocks: 2
; VGPRBlocks: 30
; NumSGPRsForWavesPerEU: 18
; NumVGPRsForWavesPerEU: 248
; Occupancy: 5
; WaveLimiterHint : 1
; COMPUTE_PGM_RSRC2:SCRATCH_EN: 0
; COMPUTE_PGM_RSRC2:USER_SGPR: 2
; COMPUTE_PGM_RSRC2:TRAP_HANDLER: 0
; COMPUTE_PGM_RSRC2:TGID_X_EN: 1
; COMPUTE_PGM_RSRC2:TGID_Y_EN: 0
; COMPUTE_PGM_RSRC2:TGID_Z_EN: 0
; COMPUTE_PGM_RSRC2:TIDIG_COMP_CNT: 0
	.text
	.p2alignl 7, 3214868480
	.fill 96, 4, 3214868480
	.type	__hip_cuid_1b47af66f9d6102b,@object ; @__hip_cuid_1b47af66f9d6102b
	.section	.bss,"aw",@nobits
	.globl	__hip_cuid_1b47af66f9d6102b
__hip_cuid_1b47af66f9d6102b:
	.byte	0                               ; 0x0
	.size	__hip_cuid_1b47af66f9d6102b, 1

	.ident	"AMD clang version 19.0.0git (https://github.com/RadeonOpenCompute/llvm-project roc-6.4.0 25133 c7fe45cf4b819c5991fe208aaa96edf142730f1d)"
	.section	".note.GNU-stack","",@progbits
	.addrsig
	.addrsig_sym __hip_cuid_1b47af66f9d6102b
	.amdgpu_metadata
---
amdhsa.kernels:
  - .args:
      - .actual_access:  read_only
        .address_space:  global
        .offset:         0
        .size:           8
        .value_kind:     global_buffer
      - .actual_access:  read_only
        .address_space:  global
        .offset:         8
        .size:           8
        .value_kind:     global_buffer
      - .actual_access:  read_only
        .address_space:  global
        .offset:         16
        .size:           8
        .value_kind:     global_buffer
      - .actual_access:  read_only
        .address_space:  global
        .offset:         24
        .size:           8
        .value_kind:     global_buffer
      - .actual_access:  read_only
        .address_space:  global
        .offset:         32
        .size:           8
        .value_kind:     global_buffer
      - .offset:         40
        .size:           8
        .value_kind:     by_value
      - .address_space:  global
        .offset:         48
        .size:           8
        .value_kind:     global_buffer
      - .address_space:  global
        .offset:         56
        .size:           8
        .value_kind:     global_buffer
      - .address_space:  global
        .offset:         64
        .size:           8
        .value_kind:     global_buffer
      - .address_space:  global
        .offset:         72
        .size:           8
        .value_kind:     global_buffer
      - .offset:         80
        .size:           4
        .value_kind:     by_value
      - .address_space:  global
        .offset:         88
        .size:           8
        .value_kind:     global_buffer
      - .address_space:  global
        .offset:         96
        .size:           8
        .value_kind:     global_buffer
    .group_segment_fixed_size: 14040
    .kernarg_segment_align: 8
    .kernarg_segment_size: 104
    .language:       OpenCL C
    .language_version:
      - 2
      - 0
    .max_flat_workgroup_size: 117
    .name:           bluestein_single_back_len1755_dim1_sp_op_CI_CI
    .private_segment_fixed_size: 0
    .sgpr_count:     18
    .sgpr_spill_count: 0
    .symbol:         bluestein_single_back_len1755_dim1_sp_op_CI_CI.kd
    .uniform_work_group_size: 1
    .uses_dynamic_stack: false
    .vgpr_count:     248
    .vgpr_spill_count: 0
    .wavefront_size: 32
    .workgroup_processor_mode: 1
amdhsa.target:   amdgcn-amd-amdhsa--gfx1201
amdhsa.version:
  - 1
  - 2
...

	.end_amdgpu_metadata
